;; amdgpu-corpus repo=ROCm/rocFFT kind=compiled arch=gfx906 opt=O3
	.text
	.amdgcn_target "amdgcn-amd-amdhsa--gfx906"
	.amdhsa_code_object_version 6
	.protected	fft_rtc_back_len1248_factors_2_2_13_2_3_2_2_wgs_52_tpt_52_halfLds_half_ip_CI_unitstride_sbrr_dirReg ; -- Begin function fft_rtc_back_len1248_factors_2_2_13_2_3_2_2_wgs_52_tpt_52_halfLds_half_ip_CI_unitstride_sbrr_dirReg
	.globl	fft_rtc_back_len1248_factors_2_2_13_2_3_2_2_wgs_52_tpt_52_halfLds_half_ip_CI_unitstride_sbrr_dirReg
	.p2align	8
	.type	fft_rtc_back_len1248_factors_2_2_13_2_3_2_2_wgs_52_tpt_52_halfLds_half_ip_CI_unitstride_sbrr_dirReg,@function
fft_rtc_back_len1248_factors_2_2_13_2_3_2_2_wgs_52_tpt_52_halfLds_half_ip_CI_unitstride_sbrr_dirReg: ; @fft_rtc_back_len1248_factors_2_2_13_2_3_2_2_wgs_52_tpt_52_halfLds_half_ip_CI_unitstride_sbrr_dirReg
; %bb.0:
	s_load_dwordx2 s[2:3], s[4:5], 0x50
	s_load_dwordx4 s[8:11], s[4:5], 0x0
	s_load_dwordx2 s[12:13], s[4:5], 0x18
	v_mul_u32_u24_e32 v1, 0x4ed, v0
	v_add_u32_sdwa v5, s6, v1 dst_sel:DWORD dst_unused:UNUSED_PAD src0_sel:DWORD src1_sel:WORD_1
	v_mov_b32_e32 v3, 0
	s_waitcnt lgkmcnt(0)
	v_cmp_lt_u64_e64 s[0:1], s[10:11], 2
	v_mov_b32_e32 v1, 0
	v_mov_b32_e32 v6, v3
	s_and_b64 vcc, exec, s[0:1]
	v_mov_b32_e32 v2, 0
	s_cbranch_vccnz .LBB0_8
; %bb.1:
	s_load_dwordx2 s[0:1], s[4:5], 0x10
	s_add_u32 s6, s12, 8
	s_addc_u32 s7, s13, 0
	v_mov_b32_e32 v1, 0
	v_mov_b32_e32 v2, 0
	s_waitcnt lgkmcnt(0)
	s_add_u32 s14, s0, 8
	s_addc_u32 s15, s1, 0
	s_mov_b64 s[16:17], 1
.LBB0_2:                                ; =>This Inner Loop Header: Depth=1
	s_load_dwordx2 s[18:19], s[14:15], 0x0
                                        ; implicit-def: $vgpr7_vgpr8
	s_waitcnt lgkmcnt(0)
	v_or_b32_e32 v4, s19, v6
	v_cmp_ne_u64_e32 vcc, 0, v[3:4]
	s_and_saveexec_b64 s[0:1], vcc
	s_xor_b64 s[20:21], exec, s[0:1]
	s_cbranch_execz .LBB0_4
; %bb.3:                                ;   in Loop: Header=BB0_2 Depth=1
	v_cvt_f32_u32_e32 v4, s18
	v_cvt_f32_u32_e32 v7, s19
	s_sub_u32 s0, 0, s18
	s_subb_u32 s1, 0, s19
	v_mac_f32_e32 v4, 0x4f800000, v7
	v_rcp_f32_e32 v4, v4
	v_mul_f32_e32 v4, 0x5f7ffffc, v4
	v_mul_f32_e32 v7, 0x2f800000, v4
	v_trunc_f32_e32 v7, v7
	v_mac_f32_e32 v4, 0xcf800000, v7
	v_cvt_u32_f32_e32 v7, v7
	v_cvt_u32_f32_e32 v4, v4
	v_mul_lo_u32 v8, s0, v7
	v_mul_hi_u32 v9, s0, v4
	v_mul_lo_u32 v11, s1, v4
	v_mul_lo_u32 v10, s0, v4
	v_add_u32_e32 v8, v9, v8
	v_add_u32_e32 v8, v8, v11
	v_mul_hi_u32 v9, v4, v10
	v_mul_lo_u32 v11, v4, v8
	v_mul_hi_u32 v13, v4, v8
	v_mul_hi_u32 v12, v7, v10
	v_mul_lo_u32 v10, v7, v10
	v_mul_hi_u32 v14, v7, v8
	v_add_co_u32_e32 v9, vcc, v9, v11
	v_addc_co_u32_e32 v11, vcc, 0, v13, vcc
	v_mul_lo_u32 v8, v7, v8
	v_add_co_u32_e32 v9, vcc, v9, v10
	v_addc_co_u32_e32 v9, vcc, v11, v12, vcc
	v_addc_co_u32_e32 v10, vcc, 0, v14, vcc
	v_add_co_u32_e32 v8, vcc, v9, v8
	v_addc_co_u32_e32 v9, vcc, 0, v10, vcc
	v_add_co_u32_e32 v4, vcc, v4, v8
	v_addc_co_u32_e32 v7, vcc, v7, v9, vcc
	v_mul_lo_u32 v8, s0, v7
	v_mul_hi_u32 v9, s0, v4
	v_mul_lo_u32 v10, s1, v4
	v_mul_lo_u32 v11, s0, v4
	v_add_u32_e32 v8, v9, v8
	v_add_u32_e32 v8, v8, v10
	v_mul_lo_u32 v12, v4, v8
	v_mul_hi_u32 v13, v4, v11
	v_mul_hi_u32 v14, v4, v8
	;; [unrolled: 1-line block ×3, first 2 shown]
	v_mul_lo_u32 v11, v7, v11
	v_mul_hi_u32 v9, v7, v8
	v_add_co_u32_e32 v12, vcc, v13, v12
	v_addc_co_u32_e32 v13, vcc, 0, v14, vcc
	v_mul_lo_u32 v8, v7, v8
	v_add_co_u32_e32 v11, vcc, v12, v11
	v_addc_co_u32_e32 v10, vcc, v13, v10, vcc
	v_addc_co_u32_e32 v9, vcc, 0, v9, vcc
	v_add_co_u32_e32 v8, vcc, v10, v8
	v_addc_co_u32_e32 v9, vcc, 0, v9, vcc
	v_add_co_u32_e32 v4, vcc, v4, v8
	v_addc_co_u32_e32 v9, vcc, v7, v9, vcc
	v_mad_u64_u32 v[7:8], s[0:1], v5, v9, 0
	v_mul_hi_u32 v10, v5, v4
	v_add_co_u32_e32 v11, vcc, v10, v7
	v_addc_co_u32_e32 v12, vcc, 0, v8, vcc
	v_mad_u64_u32 v[7:8], s[0:1], v6, v4, 0
	v_mad_u64_u32 v[9:10], s[0:1], v6, v9, 0
	v_add_co_u32_e32 v4, vcc, v11, v7
	v_addc_co_u32_e32 v4, vcc, v12, v8, vcc
	v_addc_co_u32_e32 v7, vcc, 0, v10, vcc
	v_add_co_u32_e32 v4, vcc, v4, v9
	v_addc_co_u32_e32 v9, vcc, 0, v7, vcc
	v_mul_lo_u32 v10, s19, v4
	v_mul_lo_u32 v11, s18, v9
	v_mad_u64_u32 v[7:8], s[0:1], s18, v4, 0
	v_add3_u32 v8, v8, v11, v10
	v_sub_u32_e32 v10, v6, v8
	v_mov_b32_e32 v11, s19
	v_sub_co_u32_e32 v7, vcc, v5, v7
	v_subb_co_u32_e64 v10, s[0:1], v10, v11, vcc
	v_subrev_co_u32_e64 v11, s[0:1], s18, v7
	v_subbrev_co_u32_e64 v10, s[0:1], 0, v10, s[0:1]
	v_cmp_le_u32_e64 s[0:1], s19, v10
	v_cndmask_b32_e64 v12, 0, -1, s[0:1]
	v_cmp_le_u32_e64 s[0:1], s18, v11
	v_cndmask_b32_e64 v11, 0, -1, s[0:1]
	v_cmp_eq_u32_e64 s[0:1], s19, v10
	v_cndmask_b32_e64 v10, v12, v11, s[0:1]
	v_add_co_u32_e64 v11, s[0:1], 2, v4
	v_addc_co_u32_e64 v12, s[0:1], 0, v9, s[0:1]
	v_add_co_u32_e64 v13, s[0:1], 1, v4
	v_addc_co_u32_e64 v14, s[0:1], 0, v9, s[0:1]
	v_subb_co_u32_e32 v8, vcc, v6, v8, vcc
	v_cmp_ne_u32_e64 s[0:1], 0, v10
	v_cmp_le_u32_e32 vcc, s19, v8
	v_cndmask_b32_e64 v10, v14, v12, s[0:1]
	v_cndmask_b32_e64 v12, 0, -1, vcc
	v_cmp_le_u32_e32 vcc, s18, v7
	v_cndmask_b32_e64 v7, 0, -1, vcc
	v_cmp_eq_u32_e32 vcc, s19, v8
	v_cndmask_b32_e32 v7, v12, v7, vcc
	v_cmp_ne_u32_e32 vcc, 0, v7
	v_cndmask_b32_e64 v7, v13, v11, s[0:1]
	v_cndmask_b32_e32 v8, v9, v10, vcc
	v_cndmask_b32_e32 v7, v4, v7, vcc
.LBB0_4:                                ;   in Loop: Header=BB0_2 Depth=1
	s_andn2_saveexec_b64 s[0:1], s[20:21]
	s_cbranch_execz .LBB0_6
; %bb.5:                                ;   in Loop: Header=BB0_2 Depth=1
	v_cvt_f32_u32_e32 v4, s18
	s_sub_i32 s20, 0, s18
	v_rcp_iflag_f32_e32 v4, v4
	v_mul_f32_e32 v4, 0x4f7ffffe, v4
	v_cvt_u32_f32_e32 v4, v4
	v_mul_lo_u32 v7, s20, v4
	v_mul_hi_u32 v7, v4, v7
	v_add_u32_e32 v4, v4, v7
	v_mul_hi_u32 v4, v5, v4
	v_mul_lo_u32 v7, v4, s18
	v_add_u32_e32 v8, 1, v4
	v_sub_u32_e32 v7, v5, v7
	v_subrev_u32_e32 v9, s18, v7
	v_cmp_le_u32_e32 vcc, s18, v7
	v_cndmask_b32_e32 v7, v7, v9, vcc
	v_cndmask_b32_e32 v4, v4, v8, vcc
	v_add_u32_e32 v8, 1, v4
	v_cmp_le_u32_e32 vcc, s18, v7
	v_cndmask_b32_e32 v7, v4, v8, vcc
	v_mov_b32_e32 v8, v3
.LBB0_6:                                ;   in Loop: Header=BB0_2 Depth=1
	s_or_b64 exec, exec, s[0:1]
	v_mul_lo_u32 v4, v8, s18
	v_mul_lo_u32 v11, v7, s19
	v_mad_u64_u32 v[9:10], s[0:1], v7, s18, 0
	s_load_dwordx2 s[0:1], s[6:7], 0x0
	s_add_u32 s16, s16, 1
	v_add3_u32 v4, v10, v11, v4
	v_sub_co_u32_e32 v5, vcc, v5, v9
	v_subb_co_u32_e32 v4, vcc, v6, v4, vcc
	s_waitcnt lgkmcnt(0)
	v_mul_lo_u32 v4, s0, v4
	v_mul_lo_u32 v6, s1, v5
	v_mad_u64_u32 v[1:2], s[0:1], s0, v5, v[1:2]
	s_addc_u32 s17, s17, 0
	s_add_u32 s6, s6, 8
	v_add3_u32 v2, v6, v2, v4
	v_mov_b32_e32 v4, s10
	v_mov_b32_e32 v5, s11
	s_addc_u32 s7, s7, 0
	v_cmp_ge_u64_e32 vcc, s[16:17], v[4:5]
	s_add_u32 s14, s14, 8
	s_addc_u32 s15, s15, 0
	s_cbranch_vccnz .LBB0_9
; %bb.7:                                ;   in Loop: Header=BB0_2 Depth=1
	v_mov_b32_e32 v5, v7
	v_mov_b32_e32 v6, v8
	s_branch .LBB0_2
.LBB0_8:
	v_mov_b32_e32 v8, v6
	v_mov_b32_e32 v7, v5
.LBB0_9:
	s_lshl_b64 s[0:1], s[10:11], 3
	s_add_u32 s0, s12, s0
	s_addc_u32 s1, s13, s1
	s_load_dwordx2 s[6:7], s[0:1], 0x0
	s_load_dwordx2 s[10:11], s[4:5], 0x20
	v_mov_b32_e32 v31, 0
	v_mov_b32_e32 v25, 0
	;; [unrolled: 1-line block ×3, first 2 shown]
	s_waitcnt lgkmcnt(0)
	v_mad_u64_u32 v[2:3], s[0:1], s6, v7, v[1:2]
	v_mul_lo_u32 v4, s6, v8
	v_mul_lo_u32 v5, s7, v7
	s_mov_b32 s0, 0x4ec4ec5
	v_mul_hi_u32 v1, v0, s0
	v_cmp_gt_u64_e32 vcc, s[10:11], v[7:8]
	v_add3_u32 v3, v5, v3, v4
	v_lshlrev_b64 v[2:3], 2, v[2:3]
	v_mul_u32_u24_e32 v1, 52, v1
	v_sub_u32_e32 v0, v0, v1
	v_mov_b32_e32 v1, 0
	v_mov_b32_e32 v11, 0
	;; [unrolled: 1-line block ×9, first 2 shown]
                                        ; implicit-def: $vgpr4
                                        ; implicit-def: $vgpr18
                                        ; implicit-def: $vgpr49
                                        ; implicit-def: $vgpr8
                                        ; implicit-def: $vgpr48
                                        ; implicit-def: $vgpr7
                                        ; implicit-def: $vgpr47
                                        ; implicit-def: $vgpr5
                                        ; implicit-def: $vgpr46
                                        ; implicit-def: $vgpr17
                                        ; implicit-def: $vgpr45
                                        ; implicit-def: $vgpr16
                                        ; implicit-def: $vgpr44
                                        ; implicit-def: $vgpr15
                                        ; implicit-def: $vgpr43
                                        ; implicit-def: $vgpr14
                                        ; implicit-def: $vgpr42
                                        ; implicit-def: $vgpr13
                                        ; implicit-def: $vgpr41
                                        ; implicit-def: $vgpr12
                                        ; implicit-def: $vgpr40
                                        ; implicit-def: $vgpr10
                                        ; implicit-def: $vgpr39
                                        ; implicit-def: $vgpr9
	s_and_saveexec_b64 s[4:5], vcc
	s_cbranch_execz .LBB0_11
; %bb.10:
	v_mov_b32_e32 v1, 0
	v_mov_b32_e32 v4, s3
	v_add_co_u32_e64 v6, s[0:1], s2, v2
	v_addc_co_u32_e64 v7, s[0:1], v4, v3, s[0:1]
	v_lshlrev_b64 v[4:5], 2, v[0:1]
	v_add_co_u32_e64 v19, s[0:1], v6, v4
	v_addc_co_u32_e64 v20, s[0:1], v7, v5, s[0:1]
	s_movk_i32 s0, 0x1000
	v_add_co_u32_e64 v28, s[0:1], s0, v19
	global_load_dword v18, v[19:20], off offset:2496
	global_load_dword v8, v[19:20], off offset:2704
	global_load_dword v7, v[19:20], off offset:2912
	global_load_dword v5, v[19:20], off offset:3120
	global_load_dword v1, v[19:20], off
	global_load_dword v31, v[19:20], off offset:208
	global_load_dword v25, v[19:20], off offset:416
	global_load_dword v6, v[19:20], off offset:624
	global_load_dword v11, v[19:20], off offset:832
	global_load_dword v22, v[19:20], off offset:1040
	global_load_dword v24, v[19:20], off offset:1248
	global_load_dword v27, v[19:20], off offset:1456
	v_addc_co_u32_e64 v29, s[0:1], 0, v20, s[0:1]
	global_load_dword v33, v[19:20], off offset:1664
	global_load_dword v34, v[19:20], off offset:1872
	;; [unrolled: 1-line block ×12, first 2 shown]
	s_waitcnt vmcnt(23)
	v_lshrrev_b32_e32 v4, 16, v18
	s_waitcnt vmcnt(22)
	v_lshrrev_b32_e32 v49, 16, v8
	;; [unrolled: 2-line block ×12, first 2 shown]
.LBB0_11:
	s_or_b64 exec, exec, s[4:5]
	v_sub_f16_e32 v18, v1, v18
	v_fma_f16 v19, v1, 2.0, -v18
	v_pack_b32_f16 v18, v19, v18
	v_lshl_add_u32 v50, v0, 2, 0
	v_sub_f16_e32 v8, v31, v8
	ds_write_b32 v50, v18
	v_fma_f16 v18, v31, 2.0, -v8
	v_pack_b32_f16 v18, v18, v8
	v_add_u32_e32 v8, 52, v0
	v_lshl_add_u32 v51, v8, 2, 0
	v_sub_f16_e32 v7, v25, v7
	ds_write_b32 v51, v18
	v_fma_f16 v18, v25, 2.0, -v7
	v_add_u32_e32 v20, 0x68, v0
	v_pack_b32_f16 v7, v18, v7
	v_lshl_add_u32 v52, v20, 2, 0
	v_sub_f16_e32 v5, v6, v5
	ds_write_b32 v52, v7
	v_fma_f16 v7, v6, 2.0, -v5
	v_pack_b32_f16 v5, v7, v5
	v_add_u32_e32 v7, 0x9c, v0
	v_lshl_add_u32 v53, v7, 2, 0
	ds_write_b32 v53, v5
	v_sub_f16_e32 v5, v11, v17
	v_fma_f16 v17, v11, 2.0, -v5
	v_add_u32_e32 v19, 0xd0, v0
	v_pack_b32_f16 v5, v17, v5
	v_lshl_add_u32 v54, v19, 2, 0
	ds_write_b32 v54, v5
	v_sub_f16_e32 v5, v22, v16
	v_fma_f16 v16, v22, 2.0, -v5
	v_add_u32_e32 v18, 0x104, v0
	v_pack_b32_f16 v5, v16, v5
	;; [unrolled: 6-line block ×4, first 2 shown]
	v_lshl_add_u32 v57, v16, 2, 0
	ds_write_b32 v57, v5
	v_sub_f16_e32 v5, v33, v13
	v_fma_f16 v13, v33, 2.0, -v5
	v_pack_b32_f16 v13, v13, v5
	v_add_u32_e32 v5, 0x1a0, v0
	v_lshl_add_u32 v58, v5, 2, 0
	v_sub_f16_e32 v12, v34, v12
	ds_write_b32 v58, v13
	v_fma_f16 v13, v34, 2.0, -v12
	v_add_u32_e32 v14, 0x1d4, v0
	v_pack_b32_f16 v12, v13, v12
	v_lshl_add_u32 v59, v14, 2, 0
	v_sub_f16_e32 v10, v35, v10
	v_lshrrev_b32_e32 v1, 16, v1
	ds_write_b32 v59, v12
	v_fma_f16 v12, v35, 2.0, -v10
	v_add_u32_e32 v13, 0x208, v0
	v_sub_f16_e32 v4, v1, v4
	v_lshrrev_b32_e32 v31, 16, v31
	v_pack_b32_f16 v10, v12, v10
	v_lshl_add_u32 v60, v13, 2, 0
	s_waitcnt vmcnt(0)
	v_sub_f16_e32 v9, v38, v9
	v_fma_f16 v1, v1, 2.0, -v4
	v_sub_f16_e32 v49, v31, v49
	ds_write_b32 v60, v10
	v_fma_f16 v10, v38, 2.0, -v9
	v_add_u32_e32 v12, 0x23c, v0
	v_pack_b32_f16 v62, v1, v4
	v_lshlrev_b32_e32 v4, 1, v0
	v_fma_f16 v31, v31, 2.0, -v49
	v_pack_b32_f16 v9, v10, v9
	v_lshl_add_u32 v61, v12, 2, 0
	v_add_u32_e32 v15, 0, v4
	v_pack_b32_f16 v31, v31, v49
	v_lshrrev_b32_e32 v25, 16, v25
	ds_write_b32 v61, v9
	s_waitcnt lgkmcnt(0)
	; wave barrier
	s_waitcnt lgkmcnt(0)
	ds_read_u16 v9, v15 offset:1456
	ds_read_u16 v1, v15 offset:1560
	ds_read_u16 v63, v15
	ds_read_u16 v69, v15 offset:104
	ds_read_u16 v82, v15 offset:208
	;; [unrolled: 1-line block ×21, first 2 shown]
	s_waitcnt lgkmcnt(0)
	; wave barrier
	s_waitcnt lgkmcnt(0)
	ds_write_b32 v51, v31
	v_sub_f16_e32 v31, v25, v48
	v_fma_f16 v25, v25, 2.0, -v31
	v_pack_b32_f16 v25, v25, v31
	v_lshrrev_b32_e32 v6, 16, v6
	ds_write_b32 v52, v25
	v_sub_f16_e32 v25, v6, v47
	v_fma_f16 v6, v6, 2.0, -v25
	v_pack_b32_f16 v6, v6, v25
	ds_write_b32 v53, v6
	v_lshrrev_b32_e32 v6, 16, v11
	v_sub_f16_e32 v11, v6, v46
	v_fma_f16 v6, v6, 2.0, -v11
	v_pack_b32_f16 v6, v6, v11
	ds_write_b32 v54, v6
	v_lshrrev_b32_e32 v6, 16, v22
	;; [unrolled: 5-line block ×8, first 2 shown]
	v_sub_f16_e32 v11, v6, v39
	v_fma_f16 v6, v6, 2.0, -v11
	v_pack_b32_f16 v6, v6, v11
	v_and_b32_e32 v11, 1, v0
	ds_write_b32 v61, v6
	v_lshlrev_b32_e32 v6, 2, v11
	ds_write_b32 v50, v62
	s_waitcnt lgkmcnt(0)
	; wave barrier
	s_waitcnt lgkmcnt(0)
	global_load_dword v53, v6, s[8:9]
	ds_read_u16 v62, v15 offset:1248
	ds_read_u16 v61, v15 offset:1352
	;; [unrolled: 1-line block ×5, first 2 shown]
	s_movk_i32 s0, 0x7c
	v_and_or_b32 v24, v4, s0, v11
	v_lshl_add_u32 v72, v24, 1, 0
	s_movk_i32 s0, 0xfc
	s_movk_i32 s1, 0x2fc
	s_waitcnt vmcnt(0) lgkmcnt(4)
	v_mul_f16_sdwa v6, v62, v53 dst_sel:DWORD dst_unused:UNUSED_PAD src0_sel:DWORD src1_sel:WORD_1
	v_fma_f16 v6, v37, v53, v6
	v_sub_f16_e32 v6, v63, v6
	v_fma_f16 v22, v63, 2.0, -v6
	ds_read_u16 v57, v15 offset:832
	ds_read_u16 v56, v15 offset:936
	;; [unrolled: 1-line block ×3, first 2 shown]
	ds_read_u16 v71, v15
	ds_read_u16 v70, v15 offset:104
	ds_read_u16 v68, v15 offset:208
	;; [unrolled: 1-line block ×15, first 2 shown]
	s_waitcnt lgkmcnt(0)
	; wave barrier
	s_waitcnt lgkmcnt(0)
	ds_write_b16 v72, v22
	ds_write_b16 v72, v6 offset:4
	v_mul_f16_sdwa v6, v61, v53 dst_sel:DWORD dst_unused:UNUSED_PAD src0_sel:DWORD src1_sel:WORD_1
	v_fma_f16 v6, v36, v53, v6
	v_sub_f16_e32 v22, v69, v6
	v_lshlrev_b32_e32 v6, 1, v8
	v_and_or_b32 v25, v6, s0, v11
	v_fma_f16 v24, v69, 2.0, -v22
	v_lshl_add_u32 v81, v25, 1, 0
	ds_write_b16 v81, v24
	ds_write_b16 v81, v22 offset:4
	v_mul_f16_sdwa v22, v60, v53 dst_sel:DWORD dst_unused:UNUSED_PAD src0_sel:DWORD src1_sel:WORD_1
	v_fma_f16 v22, v9, v53, v22
	s_movk_i32 s0, 0x1fc
	v_lshlrev_b32_e32 v25, 1, v20
	v_sub_f16_e32 v22, v82, v22
	v_and_or_b32 v25, v25, s0, v11
	v_fma_f16 v24, v82, 2.0, -v22
	v_lshl_add_u32 v82, v25, 1, 0
	ds_write_b16 v82, v24
	ds_write_b16 v82, v22 offset:4
	v_mul_f16_sdwa v22, v58, v53 dst_sel:DWORD dst_unused:UNUSED_PAD src0_sel:DWORD src1_sel:WORD_1
	v_fma_f16 v22, v1, v53, v22
	v_lshlrev_b32_e32 v25, 1, v7
	v_sub_f16_e32 v22, v83, v22
	v_and_or_b32 v25, v25, s0, v11
	v_fma_f16 v24, v83, 2.0, -v22
	v_lshl_add_u32 v83, v25, 1, 0
	ds_write_b16 v83, v24
	ds_write_b16 v83, v22 offset:4
	v_mul_f16_sdwa v22, v80, v53 dst_sel:DWORD dst_unused:UNUSED_PAD src0_sel:DWORD src1_sel:WORD_1
	v_fma_f16 v22, v32, v53, v22
	s_movk_i32 s0, 0x3fc
	v_lshlrev_b32_e32 v25, 1, v19
	v_sub_f16_e32 v22, v84, v22
	v_and_or_b32 v25, v25, s0, v11
	v_fma_f16 v24, v84, 2.0, -v22
	v_lshl_add_u32 v84, v25, 1, 0
	ds_write_b16 v84, v24
	ds_write_b16 v84, v22 offset:4
	v_mul_f16_sdwa v22, v79, v53 dst_sel:DWORD dst_unused:UNUSED_PAD src0_sel:DWORD src1_sel:WORD_1
	v_fma_f16 v22, v30, v53, v22
	v_lshlrev_b32_e32 v25, 1, v18
	v_sub_f16_e32 v22, v85, v22
	v_and_or_b32 v25, v25, s1, v11
	v_fma_f16 v24, v85, 2.0, -v22
	v_lshl_add_u32 v85, v25, 1, 0
	ds_write_b16 v85, v24
	ds_write_b16 v85, v22 offset:4
	v_mul_f16_sdwa v22, v78, v53 dst_sel:DWORD dst_unused:UNUSED_PAD src0_sel:DWORD src1_sel:WORD_1
	v_fma_f16 v22, v29, v53, v22
	v_lshlrev_b32_e32 v24, 1, v17
	v_sub_f16_e32 v25, v86, v22
	v_and_or_b32 v24, v24, s1, v11
	v_fma_f16 v22, v86, 2.0, -v25
	v_lshl_add_u32 v86, v24, 1, 0
	ds_write_b16 v86, v22
	v_lshlrev_b32_e32 v22, 1, v16
	v_and_or_b32 v40, v22, s0, v11
	v_lshlrev_b32_e32 v22, 1, v5
	v_and_or_b32 v41, v22, s0, v11
	s_movk_i32 s0, 0x7fc
	v_lshlrev_b32_e32 v22, 1, v14
	v_and_or_b32 v42, v22, s0, v11
	s_movk_i32 s0, 0x4fc
	v_lshlrev_b32_e32 v22, 1, v13
	v_mul_f16_sdwa v24, v75, v53 dst_sel:DWORD dst_unused:UNUSED_PAD src0_sel:DWORD src1_sel:WORD_1
	v_and_or_b32 v43, v22, s0, v11
	v_lshlrev_b32_e32 v22, 1, v12
	v_fma_f16 v27, v23, v53, v24
	v_mul_f16_sdwa v24, v74, v53 dst_sel:DWORD dst_unused:UNUSED_PAD src0_sel:DWORD src1_sel:WORD_1
	v_and_or_b32 v45, v22, s0, v11
	v_mul_f16_sdwa v11, v77, v53 dst_sel:DWORD dst_unused:UNUSED_PAD src0_sel:DWORD src1_sel:WORD_1
	v_mul_f16_sdwa v22, v76, v53 dst_sel:DWORD dst_unused:UNUSED_PAD src0_sel:DWORD src1_sel:WORD_1
	v_fma_f16 v31, v21, v53, v24
	v_mul_f16_sdwa v24, v73, v53 dst_sel:DWORD dst_unused:UNUSED_PAD src0_sel:DWORD src1_sel:WORD_1
	v_fma_f16 v11, v28, v53, v11
	v_fma_f16 v22, v26, v53, v22
	;; [unrolled: 1-line block ×3, first 2 shown]
	v_sub_f16_e32 v11, v87, v11
	v_sub_f16_e32 v22, v88, v22
	;; [unrolled: 1-line block ×5, first 2 shown]
	v_fma_f16 v24, v87, 2.0, -v11
	v_fma_f16 v33, v88, 2.0, -v22
	v_fma_f16 v38, v89, 2.0, -v27
	v_fma_f16 v39, v90, 2.0, -v31
	v_fma_f16 v34, v91, 2.0, -v35
	v_lshl_add_u32 v87, v40, 1, 0
	v_lshl_add_u32 v88, v41, 1, 0
	;; [unrolled: 1-line block ×5, first 2 shown]
	ds_write_b16 v86, v25 offset:4
	ds_write_b16 v87, v24
	ds_write_b16 v87, v11 offset:4
	ds_write_b16 v88, v33
	;; [unrolled: 2-line block ×5, first 2 shown]
	ds_write_b16 v91, v35 offset:4
	s_waitcnt lgkmcnt(0)
	; wave barrier
	s_waitcnt lgkmcnt(0)
	ds_read_u16 v69, v15
	ds_read_u16 v52, v15 offset:192
	ds_read_u16 v50, v15 offset:384
	;; [unrolled: 1-line block ×12, first 2 shown]
	v_cmp_gt_u32_e64 s[0:1], 44, v0
                                        ; implicit-def: $vgpr43
                                        ; implicit-def: $vgpr42
	s_and_saveexec_b64 s[4:5], s[0:1]
	s_cbranch_execz .LBB0_13
; %bb.12:
	ds_read_u16 v25, v15 offset:104
	ds_read_u16 v24, v15 offset:296
	;; [unrolled: 1-line block ×13, first 2 shown]
.LBB0_13:
	s_or_b64 exec, exec, s[4:5]
	v_mul_f16_sdwa v37, v37, v53 dst_sel:DWORD dst_unused:UNUSED_PAD src0_sel:DWORD src1_sel:WORD_1
	v_mul_f16_sdwa v36, v36, v53 dst_sel:DWORD dst_unused:UNUSED_PAD src0_sel:DWORD src1_sel:WORD_1
	;; [unrolled: 1-line block ×4, first 2 shown]
	v_fma_f16 v37, v62, v53, -v37
	v_fma_f16 v36, v61, v53, -v36
	;; [unrolled: 1-line block ×3, first 2 shown]
	v_mul_f16_sdwa v1, v1, v53 dst_sel:DWORD dst_unused:UNUSED_PAD src0_sel:DWORD src1_sel:WORD_1
	v_mul_f16_sdwa v32, v32, v53 dst_sel:DWORD dst_unused:UNUSED_PAD src0_sel:DWORD src1_sel:WORD_1
	;; [unrolled: 1-line block ×3, first 2 shown]
	v_fma_f16 v29, v78, v53, -v29
	v_mul_f16_sdwa v28, v28, v53 dst_sel:DWORD dst_unused:UNUSED_PAD src0_sel:DWORD src1_sel:WORD_1
	v_mul_f16_sdwa v26, v26, v53 dst_sel:DWORD dst_unused:UNUSED_PAD src0_sel:DWORD src1_sel:WORD_1
	;; [unrolled: 1-line block ×5, first 2 shown]
	v_fma_f16 v1, v58, v53, -v1
	v_fma_f16 v32, v80, v53, -v32
	;; [unrolled: 1-line block ×8, first 2 shown]
	v_sub_f16_e32 v37, v71, v37
	v_sub_f16_e32 v36, v70, v36
	;; [unrolled: 1-line block ×4, first 2 shown]
	v_fma_f16 v61, v71, 2.0, -v37
	v_fma_f16 v62, v70, 2.0, -v36
	v_sub_f16_e32 v1, v67, v1
	v_sub_f16_e32 v32, v66, v32
	;; [unrolled: 1-line block ×3, first 2 shown]
	v_fma_f16 v29, v64, 2.0, -v9
	v_sub_f16_e32 v10, v63, v28
	v_sub_f16_e32 v21, v57, v26
	;; [unrolled: 1-line block ×5, first 2 shown]
	v_fma_f16 v68, v68, 2.0, -v75
	v_fma_f16 v67, v67, 2.0, -v1
	;; [unrolled: 1-line block ×9, first 2 shown]
	s_waitcnt lgkmcnt(0)
	; wave barrier
	s_waitcnt lgkmcnt(0)
	ds_write_b16 v72, v61
	ds_write_b16 v72, v37 offset:4
	ds_write_b16 v81, v62
	ds_write_b16 v81, v36 offset:4
	ds_write_b16 v82, v68
	ds_write_b16 v82, v75 offset:4
	ds_write_b16 v83, v67
	ds_write_b16 v83, v1 offset:4
	ds_write_b16 v84, v66
	ds_write_b16 v84, v32 offset:4
	ds_write_b16 v85, v65
	ds_write_b16 v85, v76 offset:4
	ds_write_b16 v86, v29
	ds_write_b16 v86, v9 offset:4
	ds_write_b16 v87, v23
	ds_write_b16 v87, v10 offset:4
	ds_write_b16 v88, v28
	ds_write_b16 v88, v21 offset:4
	ds_write_b16 v89, v73
	ds_write_b16 v89, v26 offset:4
	ds_write_b16 v90, v74
	ds_write_b16 v90, v30 offset:4
	ds_write_b16 v91, v71
	ds_write_b16 v91, v70 offset:4
	s_waitcnt lgkmcnt(0)
	; wave barrier
	s_waitcnt lgkmcnt(0)
	ds_read_u16 v44, v15
	ds_read_u16 v58, v15 offset:192
	ds_read_u16 v57, v15 offset:384
	;; [unrolled: 1-line block ×12, first 2 shown]
                                        ; implicit-def: $vgpr72
                                        ; implicit-def: $vgpr75
	s_and_saveexec_b64 s[4:5], s[0:1]
	s_cbranch_execz .LBB0_15
; %bb.14:
	ds_read_u16 v9, v15 offset:104
	ds_read_u16 v23, v15 offset:296
	;; [unrolled: 1-line block ×13, first 2 shown]
.LBB0_15:
	s_or_b64 exec, exec, s[4:5]
	v_and_b32_e32 v1, 3, v0
	v_mul_u32_u24_e32 v61, 12, v1
	v_lshlrev_b32_e32 v61, 2, v61
	global_load_dwordx4 v[76:79], v61, s[8:9] offset:8
	global_load_dwordx4 v[80:83], v61, s[8:9] offset:24
	;; [unrolled: 1-line block ×3, first 2 shown]
	s_movk_i32 s20, 0x3b15
	s_movk_i32 s21, 0x388b
	s_movk_i32 s22, 0x2fb7
	s_mov_b32 s23, 0xb5ac
	s_mov_b32 s24, 0xb9fd
	;; [unrolled: 1-line block ×9, first 2 shown]
	s_movk_i32 s15, 0x394e
	s_movk_i32 s14, 0x3bf1
	;; [unrolled: 1-line block ×6, first 2 shown]
	v_lshrrev_b32_e32 v8, 2, v8
	s_waitcnt lgkmcnt(0)
	; wave barrier
	s_waitcnt vmcnt(2) lgkmcnt(0)
	v_mul_f16_sdwa v62, v52, v76 dst_sel:DWORD dst_unused:UNUSED_PAD src0_sel:DWORD src1_sel:WORD_1
	v_mul_f16_sdwa v68, v50, v77 dst_sel:DWORD dst_unused:UNUSED_PAD src0_sel:DWORD src1_sel:WORD_1
	;; [unrolled: 1-line block ×3, first 2 shown]
	s_waitcnt vmcnt(1)
	v_mul_f16_sdwa v92, v64, v80 dst_sel:DWORD dst_unused:UNUSED_PAD src0_sel:DWORD src1_sel:WORD_1
	v_mul_f16_sdwa v95, v45, v81 dst_sel:DWORD dst_unused:UNUSED_PAD src0_sel:DWORD src1_sel:WORD_1
	s_waitcnt vmcnt(0)
	v_mul_f16_sdwa v104, v32, v86 dst_sel:DWORD dst_unused:UNUSED_PAD src0_sel:DWORD src1_sel:WORD_1
	v_mul_f16_sdwa v109, v24, v76 dst_sel:DWORD dst_unused:UNUSED_PAD src0_sel:DWORD src1_sel:WORD_1
	v_mul_f16_sdwa v116, v73, v80 dst_sel:DWORD dst_unused:UNUSED_PAD src0_sel:DWORD src1_sel:WORD_1
	v_mul_f16_sdwa v67, v57, v77 dst_sel:DWORD dst_unused:UNUSED_PAD src0_sel:DWORD src1_sel:WORD_1
	v_mul_f16_sdwa v89, v49, v78 dst_sel:DWORD dst_unused:UNUSED_PAD src0_sel:DWORD src1_sel:WORD_1
	v_mul_f16_sdwa v93, v46, v80 dst_sel:DWORD dst_unused:UNUSED_PAD src0_sel:DWORD src1_sel:WORD_1
	v_mul_f16_sdwa v94, v63, v81 dst_sel:DWORD dst_unused:UNUSED_PAD src0_sel:DWORD src1_sel:WORD_1
	v_mul_f16_sdwa v105, v41, v86 dst_sel:DWORD dst_unused:UNUSED_PAD src0_sel:DWORD src1_sel:WORD_1
	v_mul_f16_sdwa v107, v40, v87 dst_sel:DWORD dst_unused:UNUSED_PAD src0_sel:DWORD src1_sel:WORD_1
	v_mul_f16_sdwa v108, v23, v76 dst_sel:DWORD dst_unused:UNUSED_PAD src0_sel:DWORD src1_sel:WORD_1
	v_mul_f16_sdwa v115, v22, v79 dst_sel:DWORD dst_unused:UNUSED_PAD src0_sel:DWORD src1_sel:WORD_1
	v_mul_f16_sdwa v117, v38, v80 dst_sel:DWORD dst_unused:UNUSED_PAD src0_sel:DWORD src1_sel:WORD_1
	v_mul_f16_sdwa v120, v74, v82 dst_sel:DWORD dst_unused:UNUSED_PAD src0_sel:DWORD src1_sel:WORD_1
	v_fma_f16 v66, v58, v76, -v62
	v_fma_f16 v62, v57, v77, -v68
	v_fma_f16 v57, v49, v78, v88
	v_fma_f16 v49, v46, v80, v92
	v_fma_f16 v46, v63, v81, -v95
	v_fma_f16 v63, v41, v86, v104
	v_fma_f16 v41, v23, v76, -v109
	v_fma_f16 v23, v38, v80, v116
	v_mul_f16_sdwa v38, v75, v86 dst_sel:DWORD dst_unused:UNUSED_PAD src0_sel:DWORD src1_sel:WORD_1
	v_mul_f16_sdwa v106, v29, v87 dst_sel:DWORD dst_unused:UNUSED_PAD src0_sel:DWORD src1_sel:WORD_1
	;; [unrolled: 1-line block ×4, first 2 shown]
	v_fma_f16 v68, v29, v87, -v107
	v_fma_f16 v29, v21, v79, -v115
	v_fma_f16 v21, v39, v82, v120
	v_fma_f16 v38, v42, v86, v38
	v_mul_f16_sdwa v39, v42, v86 dst_sel:DWORD dst_unused:UNUSED_PAD src0_sel:DWORD src1_sel:WORD_1
	v_mul_f16_sdwa v42, v72, v87 dst_sel:DWORD dst_unused:UNUSED_PAD src0_sel:DWORD src1_sel:WORD_1
	;; [unrolled: 1-line block ×14, first 2 shown]
	v_fma_f16 v42, v43, v87, v42
	v_mul_f16_sdwa v43, v43, v87 dst_sel:DWORD dst_unused:UNUSED_PAD src0_sel:DWORD src1_sel:WORD_1
	v_mul_f16_sdwa v91, v48, v79 dst_sel:DWORD dst_unused:UNUSED_PAD src0_sel:DWORD src1_sel:WORD_1
	;; [unrolled: 1-line block ×8, first 2 shown]
	v_fma_f16 v65, v52, v76, v61
	v_fma_f16 v61, v50, v77, v67
	v_fma_f16 v58, v53, v78, -v89
	v_fma_f16 v53, v48, v79, v90
	v_fma_f16 v48, v60, v82, -v97
	v_fma_f16 v52, v56, v83, -v99
	;; [unrolled: 1-line block ×4, first 2 shown]
	v_fma_f16 v67, v40, v87, v106
	v_fma_f16 v36, v11, v77, v110
	v_fma_f16 v37, v10, v77, -v111
	v_fma_f16 v10, v27, v81, v118
	v_fma_f16 v11, v26, v81, -v119
	;; [unrolled: 2-line block ×3, first 2 shown]
	v_mul_f16_sdwa v30, v71, v84 dst_sel:DWORD dst_unused:UNUSED_PAD src0_sel:DWORD src1_sel:WORD_1
	v_mul_f16_sdwa v31, v34, v84 dst_sel:DWORD dst_unused:UNUSED_PAD src0_sel:DWORD src1_sel:WORD_1
	v_fma_f16 v43, v72, v87, -v43
	v_sub_f16_e32 v72, v66, v68
	v_fma_f16 v54, v54, v79, -v91
	v_fma_f16 v50, v64, v80, -v93
	v_fma_f16 v45, v45, v81, v94
	v_fma_f16 v64, v32, v86, -v105
	v_fma_f16 v40, v24, v76, v108
	v_fma_f16 v32, v33, v78, v112
	v_fma_f16 v33, v28, v78, -v113
	v_fma_f16 v28, v22, v79, v114
	v_fma_f16 v24, v73, v80, -v117
	;; [unrolled: 2-line block ×3, first 2 shown]
	v_mul_f16_sdwa v34, v70, v85 dst_sel:DWORD dst_unused:UNUSED_PAD src0_sel:DWORD src1_sel:WORD_1
	v_fma_f16 v39, v75, v86, -v39
	v_add_f16_e32 v71, v65, v67
	v_mul_f16_e32 v73, 0xb770, v72
	v_mul_f16_e32 v75, 0xba95, v72
	;; [unrolled: 1-line block ×6, first 2 shown]
	v_fma_f16 v47, v47, v82, v96
	v_fma_f16 v51, v51, v83, v98
	v_fma_f16 v22, v74, v82, -v121
	v_fma_f16 v34, v35, v85, v34
	v_mul_f16_sdwa v35, v35, v85 dst_sel:DWORD dst_unused:UNUSED_PAD src0_sel:DWORD src1_sel:WORD_1
	v_fma_f16 v74, v71, s20, v73
	v_fma_f16 v73, v71, s20, -v73
	v_fma_f16 v76, v71, s21, v75
	v_fma_f16 v75, v71, s21, -v75
	;; [unrolled: 2-line block ×6, first 2 shown]
	v_sub_f16_e32 v72, v62, v64
	v_fma_f16 v55, v55, v84, v100
	v_fma_f16 v35, v70, v85, -v35
	v_add_f16_e32 v70, v69, v65
	v_add_f16_e32 v74, v69, v74
	;; [unrolled: 1-line block ×14, first 2 shown]
	v_mul_f16_e32 v84, 0xba95, v72
	v_fma_f16 v59, v59, v85, v102
	v_fma_f16 v85, v71, s21, v84
	v_fma_f16 v84, v71, s21, -v84
	v_add_f16_e32 v73, v84, v73
	v_mul_f16_e32 v84, 0xbb7b, v72
	v_add_f16_e32 v74, v85, v74
	v_fma_f16 v85, v71, s23, v84
	v_fma_f16 v84, v71, s23, -v84
	v_add_f16_e32 v75, v84, v75
	v_mul_f16_e32 v84, 0xb3a8, v72
	v_add_f16_e32 v76, v85, v76
	v_fma_f16 v85, v71, s25, v84
	v_fma_f16 v84, v71, s25, -v84
	v_add_f16_e32 v77, v84, v77
	v_mul_f16_e32 v84, 0x394e, v72
	v_add_f16_e32 v78, v85, v78
	v_fma_f16 v85, v71, s24, v84
	v_fma_f16 v84, v71, s24, -v84
	v_add_f16_e32 v79, v84, v79
	v_mul_f16_e32 v84, 0x3bf1, v72
	v_add_f16_e32 v80, v85, v80
	v_fma_f16 v85, v71, s22, v84
	v_fma_f16 v84, v71, s22, -v84
	v_mul_f16_e32 v72, 0x3770, v72
	v_add_f16_e32 v81, v84, v81
	v_fma_f16 v84, v71, s20, v72
	v_fma_f16 v71, v71, s20, -v72
	v_sub_f16_e32 v72, v58, v60
	v_add_f16_e32 v83, v84, v83
	v_add_f16_e32 v69, v71, v69
	v_add_f16_e32 v71, v57, v59
	v_mul_f16_e32 v84, 0xbbf1, v72
	v_add_f16_e32 v82, v85, v82
	v_fma_f16 v85, v71, s22, v84
	v_fma_f16 v84, v71, s22, -v84
	v_add_f16_e32 v73, v84, v73
	v_mul_f16_e32 v84, 0xb3a8, v72
	v_add_f16_e32 v74, v85, v74
	v_fma_f16 v85, v71, s25, v84
	v_fma_f16 v84, v71, s25, -v84
	v_add_f16_e32 v75, v84, v75
	v_mul_f16_e32 v84, 0x3b7b, v72
	v_add_f16_e32 v76, v85, v76
	v_fma_f16 v85, v71, s23, v84
	v_fma_f16 v84, v71, s23, -v84
	v_add_f16_e32 v77, v84, v77
	v_mul_f16_e32 v84, 0x3770, v72
	v_add_f16_e32 v78, v85, v78
	v_fma_f16 v85, v71, s20, v84
	v_fma_f16 v84, v71, s20, -v84
	v_add_f16_e32 v79, v84, v79
	v_mul_f16_e32 v84, 0xba95, v72
	v_add_f16_e32 v80, v85, v80
	v_fma_f16 v85, v71, s21, v84
	v_fma_f16 v84, v71, s21, -v84
	v_mul_f16_e32 v72, 0xb94e, v72
	v_add_f16_e32 v81, v84, v81
	v_fma_f16 v84, v71, s24, v72
	v_fma_f16 v71, v71, s24, -v72
	v_sub_f16_e32 v72, v54, v56
	v_add_f16_e32 v83, v84, v83
	v_add_f16_e32 v69, v71, v69
	v_add_f16_e32 v71, v53, v55
	v_mul_f16_e32 v84, 0xbb7b, v72
	v_add_f16_e32 v82, v85, v82
	;; [unrolled: 32-line block ×4, first 2 shown]
	v_fma_f16 v85, v71, s25, v84
	v_fma_f16 v84, v71, s25, -v84
	v_add_f16_e32 v73, v84, v73
	v_mul_f16_e32 v84, 0x3770, v72
	v_add_f16_e32 v74, v85, v74
	v_fma_f16 v85, v71, s20, v84
	v_fma_f16 v84, v71, s20, -v84
	v_add_f16_e32 v70, v70, v61
	v_add_f16_e32 v75, v84, v75
	v_mul_f16_e32 v84, 0xb94e, v72
	v_add_f16_e32 v70, v70, v57
	v_add_f16_e32 v76, v85, v76
	v_fma_f16 v85, v71, s24, v84
	v_fma_f16 v84, v71, s24, -v84
	v_add_f16_e32 v70, v70, v53
	v_add_f16_e32 v77, v84, v77
	v_mul_f16_e32 v84, 0x3a95, v72
	v_add_f16_e32 v70, v70, v49
	;; [unrolled: 7-line block ×3, first 2 shown]
	v_add_f16_e32 v80, v85, v80
	v_fma_f16 v85, v71, s23, v84
	v_fma_f16 v84, v71, s23, -v84
	v_mul_f16_e32 v72, 0x3bf1, v72
	v_add_f16_e32 v70, v70, v51
	v_add_f16_e32 v81, v84, v81
	v_fma_f16 v84, v71, s22, v72
	v_fma_f16 v71, v71, s22, -v72
	v_add_f16_e32 v70, v70, v55
	v_add_f16_e32 v71, v71, v69
	v_lshrrev_b32_e32 v69, 2, v0
	v_add_f16_e32 v70, v70, v59
	v_mul_u32_u24_e32 v69, 52, v69
	v_add_f16_e32 v70, v70, v63
	v_or_b32_e32 v69, v69, v1
	v_add_f16_e32 v70, v70, v67
	v_lshl_add_u32 v69, v69, 1, 0
	v_add_f16_e32 v82, v85, v82
	v_add_f16_e32 v83, v84, v83
	ds_write_b16 v69, v70
	ds_write_b16 v69, v74 offset:8
	ds_write_b16 v69, v76 offset:16
	ds_write_b16 v69, v78 offset:24
	ds_write_b16 v69, v80 offset:32
	ds_write_b16 v69, v82 offset:40
	ds_write_b16 v69, v83 offset:48
	ds_write_b16 v69, v71 offset:56
	ds_write_b16 v69, v81 offset:64
	ds_write_b16 v69, v79 offset:72
	ds_write_b16 v69, v77 offset:80
	ds_write_b16 v69, v75 offset:88
	ds_write_b16 v69, v73 offset:96
	s_and_saveexec_b64 s[4:5], s[0:1]
	s_cbranch_execz .LBB0_17
; %bb.16:
	v_sub_f16_e32 v72, v41, v43
	v_add_f16_e32 v71, v40, v42
	v_mul_f16_e32 v73, 0xb3a8, v72
	v_sub_f16_e32 v76, v37, v39
	v_fma_f16 v74, v71, s25, -v73
	v_add_f16_e32 v75, v36, v38
	v_mul_f16_e32 v77, 0x3770, v76
	v_add_f16_e32 v74, v25, v74
	v_fma_f16 v78, v75, s20, -v77
	v_sub_f16_e32 v79, v33, v35
	v_add_f16_e32 v74, v78, v74
	v_add_f16_e32 v78, v32, v34
	v_mul_f16_e32 v80, 0xb94e, v79
	v_fma_f16 v81, v78, s24, -v80
	v_sub_f16_e32 v82, v29, v31
	v_add_f16_e32 v74, v81, v74
	v_add_f16_e32 v81, v28, v30
	v_mul_f16_e32 v83, 0x3a95, v82
	v_fma_f16 v73, v71, s25, v73
	v_fma_f16 v84, v81, s21, -v83
	v_sub_f16_e32 v85, v24, v27
	v_add_f16_e32 v73, v25, v73
	v_fma_f16 v77, v75, s20, v77
	v_add_f16_e32 v74, v84, v74
	v_add_f16_e32 v84, v23, v26
	v_mul_f16_e32 v86, 0xbb7b, v85
	v_add_f16_e32 v73, v77, v73
	v_fma_f16 v77, v78, s24, v80
	v_fma_f16 v87, v84, s23, -v86
	v_sub_f16_e32 v88, v11, v22
	v_add_f16_e32 v73, v77, v73
	v_fma_f16 v77, v81, s21, v83
	v_add_f16_e32 v74, v87, v74
	v_add_f16_e32 v87, v10, v21
	v_mul_f16_e32 v89, 0x3bf1, v88
	v_add_f16_e32 v73, v77, v73
	v_fma_f16 v77, v84, s23, v86
	v_add_f16_e32 v73, v77, v73
	v_fma_f16 v77, v87, s22, v89
	v_add_f16_e32 v73, v77, v73
	v_mul_f16_e32 v77, 0xb94e, v72
	v_fma_f16 v80, v71, s24, -v77
	v_mul_f16_e32 v83, 0x3bf1, v76
	v_add_f16_e32 v80, v25, v80
	v_fma_f16 v86, v75, s22, -v83
	v_add_f16_e32 v80, v86, v80
	v_mul_f16_e32 v86, 0xba95, v79
	v_fma_f16 v90, v87, s22, -v89
	v_fma_f16 v89, v78, s21, -v86
	v_add_f16_e32 v80, v89, v80
	v_mul_f16_e32 v89, 0x33a8, v82
	v_fma_f16 v77, v71, s24, v77
	v_add_f16_e32 v74, v90, v74
	v_fma_f16 v90, v81, s25, -v89
	v_add_f16_e32 v77, v25, v77
	v_fma_f16 v83, v75, s22, v83
	v_add_f16_e32 v80, v90, v80
	v_mul_f16_e32 v90, 0x3770, v85
	v_add_f16_e32 v77, v83, v77
	v_fma_f16 v83, v78, s21, v86
	v_fma_f16 v91, v84, s20, -v90
	v_add_f16_e32 v77, v83, v77
	v_fma_f16 v83, v81, s25, v89
	v_add_f16_e32 v80, v91, v80
	v_mul_f16_e32 v91, 0xbb7b, v88
	v_add_f16_e32 v77, v83, v77
	v_fma_f16 v83, v84, s20, v90
	v_add_f16_e32 v77, v83, v77
	v_fma_f16 v83, v87, s23, v91
	v_add_f16_e32 v77, v83, v77
	v_mul_f16_e32 v83, 0xbb7b, v72
	v_fma_f16 v86, v71, s23, -v83
	v_mul_f16_e32 v89, 0x394e, v76
	v_add_f16_e32 v86, v25, v86
	v_fma_f16 v90, v75, s24, -v89
	v_add_f16_e32 v86, v90, v86
	v_mul_f16_e32 v90, 0x3770, v79
	v_fma_f16 v92, v87, s23, -v91
	v_fma_f16 v91, v78, s20, -v90
	v_add_f16_e32 v86, v91, v86
	v_mul_f16_e32 v91, 0xbbf1, v82
	v_fma_f16 v83, v71, s23, v83
	v_add_f16_e32 v80, v92, v80
	v_fma_f16 v92, v81, s22, -v91
	v_add_f16_e32 v83, v25, v83
	v_fma_f16 v89, v75, s24, v89
	v_add_f16_e32 v86, v92, v86
	v_mul_f16_e32 v92, 0x33a8, v85
	v_add_f16_e32 v83, v89, v83
	v_fma_f16 v89, v78, s20, v90
	v_fma_f16 v93, v84, s25, -v92
	v_add_f16_e32 v83, v89, v83
	v_fma_f16 v89, v81, s22, v91
	;; [unrolled: 30-line block ×3, first 2 shown]
	v_add_f16_e32 v90, v95, v90
	v_mul_f16_e32 v95, 0xb94e, v88
	v_add_f16_e32 v89, v91, v89
	v_fma_f16 v91, v84, s21, v94
	v_add_f16_e32 v89, v91, v89
	v_fma_f16 v91, v87, s24, v95
	v_add_f16_e32 v89, v91, v89
	v_mul_f16_e32 v91, 0xba95, v72
	v_fma_f16 v92, v71, s21, -v91
	v_mul_f16_e32 v93, 0xbb7b, v76
	v_add_f16_e32 v92, v25, v92
	v_fma_f16 v94, v75, s23, -v93
	v_add_f16_e32 v92, v94, v92
	v_mul_f16_e32 v94, 0xb3a8, v79
	v_fma_f16 v96, v87, s24, -v95
	v_fma_f16 v95, v78, s25, -v94
	v_add_f16_e32 v92, v95, v92
	v_mul_f16_e32 v95, 0x394e, v82
	v_fma_f16 v91, v71, s21, v91
	v_add_f16_e32 v90, v96, v90
	v_fma_f16 v96, v81, s24, -v95
	v_add_f16_e32 v91, v25, v91
	v_fma_f16 v93, v75, s23, v93
	v_add_f16_e32 v92, v96, v92
	v_mul_f16_e32 v96, 0x3bf1, v85
	v_add_f16_e32 v91, v93, v91
	v_fma_f16 v93, v78, s25, v94
	v_add_f16_e32 v70, v25, v40
	v_fma_f16 v97, v84, s22, -v96
	v_add_f16_e32 v91, v93, v91
	v_fma_f16 v93, v81, s24, v95
	v_add_f16_e32 v70, v70, v36
	v_add_f16_e32 v92, v97, v92
	v_mul_f16_e32 v97, 0x3770, v88
	v_add_f16_e32 v91, v93, v91
	v_fma_f16 v93, v84, s22, v96
	v_add_f16_e32 v70, v70, v32
	v_add_f16_e32 v91, v93, v91
	v_fma_f16 v93, v87, s20, v97
	v_mul_f16_e32 v72, 0xb770, v72
	v_add_f16_e32 v70, v70, v28
	v_add_f16_e32 v91, v93, v91
	v_fma_f16 v93, v71, s20, -v72
	v_mul_f16_e32 v76, 0xba95, v76
	v_fma_f16 v71, v71, s20, v72
	v_add_f16_e32 v70, v70, v23
	v_add_f16_e32 v93, v25, v93
	v_mul_f16_e32 v79, 0xbbf1, v79
	v_add_f16_e32 v25, v25, v71
	v_fma_f16 v71, v75, s21, v76
	v_add_f16_e32 v70, v70, v10
	v_mul_f16_e32 v82, 0xbb7b, v82
	v_add_f16_e32 v25, v71, v25
	v_fma_f16 v71, v78, s22, v79
	v_add_f16_e32 v70, v70, v21
	v_mul_f16_e32 v85, 0xb94e, v85
	v_add_f16_e32 v25, v71, v25
	v_fma_f16 v71, v81, s23, v82
	v_add_f16_e32 v70, v70, v26
	v_fma_f16 v94, v75, s21, -v76
	v_mul_f16_e32 v88, 0xb3a8, v88
	v_add_f16_e32 v25, v71, v25
	v_fma_f16 v71, v84, s24, v85
	v_add_f16_e32 v70, v70, v30
	v_add_f16_e32 v93, v94, v93
	v_fma_f16 v94, v78, s22, -v79
	v_add_f16_e32 v25, v71, v25
	v_fma_f16 v71, v87, s25, v88
	v_add_f16_e32 v70, v70, v34
	v_add_f16_e32 v93, v94, v93
	v_fma_f16 v94, v81, s23, -v82
	v_add_f16_e32 v25, v71, v25
	v_mul_u32_u24_e32 v71, 52, v8
	v_add_f16_e32 v70, v70, v38
	v_add_f16_e32 v93, v94, v93
	v_fma_f16 v94, v84, s24, -v85
	v_or_b32_e32 v71, v71, v1
	v_add_f16_e32 v70, v70, v42
	v_fma_f16 v98, v87, s20, -v97
	v_add_f16_e32 v93, v94, v93
	v_fma_f16 v94, v87, s25, -v88
	v_lshl_add_u32 v71, v71, 1, 0
	v_add_f16_e32 v92, v98, v92
	v_add_f16_e32 v93, v94, v93
	ds_write_b16 v71, v70
	ds_write_b16 v71, v25 offset:8
	ds_write_b16 v71, v91 offset:16
	;; [unrolled: 1-line block ×12, first 2 shown]
.LBB0_17:
	s_or_b64 exec, exec, s[4:5]
	v_add_f16_e32 v25, v44, v66
	v_add_f16_e32 v25, v25, v62
	;; [unrolled: 1-line block ×13, first 2 shown]
	v_sub_f16_e32 v65, v65, v67
	v_mul_f16_e32 v66, 0x3b15, v25
	v_mul_f16_e32 v68, 0x388b, v25
	;; [unrolled: 1-line block ×6, first 2 shown]
	v_fma_f16 v67, v65, s16, v66
	v_fma_f16 v66, v65, s10, v66
	;; [unrolled: 1-line block ×12, first 2 shown]
	v_add_f16_e32 v67, v44, v67
	v_add_f16_e32 v66, v44, v66
	;; [unrolled: 1-line block ×13, first 2 shown]
	v_sub_f16_e32 v61, v61, v63
	v_mul_f16_e32 v62, 0x388b, v44
	v_fma_f16 v63, v61, s18, v62
	v_fma_f16 v62, v61, s7, v62
	v_mul_f16_e32 v64, 0xb5ac, v44
	v_add_f16_e32 v62, v62, v66
	v_fma_f16 v65, v61, s17, v64
	v_fma_f16 v64, v61, s11, v64
	v_mul_f16_e32 v66, 0xbbc4, v44
	v_add_f16_e32 v63, v63, v67
	v_add_f16_e32 v64, v64, v68
	v_fma_f16 v67, v61, s19, v66
	v_fma_f16 v66, v61, s13, v66
	v_mul_f16_e32 v68, 0xb9fd, v44
	v_add_f16_e32 v65, v65, v71
	v_add_f16_e32 v66, v66, v72
	v_fma_f16 v71, v61, s12, v68
	v_fma_f16 v68, v61, s15, v68
	v_mul_f16_e32 v72, 0x2fb7, v44
	v_mul_f16_e32 v44, 0x3b15, v44
	v_add_f16_e32 v68, v68, v74
	v_fma_f16 v74, v61, s10, v44
	v_fma_f16 v44, v61, s16, v44
	v_add_f16_e32 v25, v44, v25
	v_add_f16_e32 v44, v58, v60
	v_sub_f16_e32 v57, v57, v59
	v_mul_f16_e32 v58, 0x2fb7, v44
	v_fma_f16 v59, v57, s14, v58
	v_fma_f16 v58, v57, s6, v58
	v_mul_f16_e32 v60, 0xbbc4, v44
	v_add_f16_e32 v67, v67, v73
	v_fma_f16 v73, v61, s6, v72
	v_fma_f16 v72, v61, s14, v72
	v_add_f16_e32 v58, v58, v62
	v_fma_f16 v61, v57, s19, v60
	v_fma_f16 v60, v57, s13, v60
	v_mul_f16_e32 v62, 0xb5ac, v44
	v_add_f16_e32 v59, v59, v63
	v_add_f16_e32 v60, v60, v64
	v_fma_f16 v63, v57, s11, v62
	v_fma_f16 v62, v57, s17, v62
	v_mul_f16_e32 v64, 0x3b15, v44
	v_add_f16_e32 v61, v61, v65
	v_add_f16_e32 v62, v62, v66
	v_fma_f16 v65, v57, s10, v64
	v_fma_f16 v64, v57, s16, v64
	v_mul_f16_e32 v66, 0x388b, v44
	v_mul_f16_e32 v44, 0xb9fd, v44
	v_add_f16_e32 v64, v64, v68
	v_fma_f16 v68, v57, s15, v44
	v_fma_f16 v44, v57, s12, v44
	v_add_f16_e32 v25, v44, v25
	v_add_f16_e32 v44, v54, v56
	v_sub_f16_e32 v53, v53, v55
	v_mul_f16_e32 v54, 0xb5ac, v44
	v_fma_f16 v55, v53, s17, v54
	v_fma_f16 v54, v53, s11, v54
	v_mul_f16_e32 v56, 0xb9fd, v44
	v_add_f16_e32 v63, v63, v67
	v_fma_f16 v67, v57, s18, v66
	v_fma_f16 v66, v57, s7, v66
	;; [unrolled: 28-line block ×3, first 2 shown]
	v_add_f16_e32 v50, v50, v54
	v_fma_f16 v53, v49, s6, v52
	v_fma_f16 v52, v49, s14, v52
	v_mul_f16_e32 v54, 0x388b, v44
	v_add_f16_e32 v51, v51, v55
	v_add_f16_e32 v52, v52, v56
	v_fma_f16 v55, v49, s18, v54
	v_fma_f16 v54, v49, s7, v54
	v_mul_f16_e32 v56, 0xbbc4, v44
	v_add_f16_e32 v53, v53, v57
	v_add_f16_e32 v54, v54, v58
	v_fma_f16 v57, v49, s13, v56
	v_fma_f16 v56, v49, s19, v56
	v_mul_f16_e32 v58, 0x3b15, v44
	v_mul_f16_e32 v44, 0xb5ac, v44
	v_add_f16_e32 v56, v56, v60
	v_fma_f16 v60, v49, s17, v44
	v_fma_f16 v44, v49, s11, v44
	v_add_f16_e32 v25, v44, v25
	v_add_f16_e32 v44, v46, v48
	;; [unrolled: 1-line block ×3, first 2 shown]
	v_sub_f16_e32 v45, v45, v47
	v_mul_f16_e32 v46, 0xbbc4, v44
	v_add_f16_e32 v73, v73, v77
	v_add_f16_e32 v68, v68, v74
	v_fma_f16 v47, v45, s19, v46
	v_fma_f16 v46, v45, s13, v46
	v_add_f16_e32 v67, v67, v73
	v_add_f16_e32 v64, v64, v68
	;; [unrolled: 1-line block ×3, first 2 shown]
	v_mul_f16_e32 v46, 0x3b15, v44
	v_add_f16_e32 v72, v72, v76
	v_add_f16_e32 v63, v63, v67
	;; [unrolled: 1-line block ×3, first 2 shown]
	v_fma_f16 v47, v45, s10, v46
	v_fma_f16 v46, v45, s16, v46
	v_add_f16_e32 v71, v71, v75
	v_add_f16_e32 v66, v66, v72
	;; [unrolled: 1-line block ×3, first 2 shown]
	v_mul_f16_e32 v46, 0xb9fd, v44
	v_add_f16_e32 v65, v65, v71
	v_add_f16_e32 v71, v47, v53
	v_fma_f16 v47, v45, s15, v46
	v_fma_f16 v46, v45, s12, v46
	v_add_f16_e32 v55, v55, v59
	v_add_f16_e32 v74, v46, v54
	v_mul_f16_e32 v46, 0x388b, v44
	v_add_f16_e32 v61, v61, v65
	v_add_f16_e32 v73, v47, v55
	v_fma_f16 v47, v45, s7, v46
	v_fma_f16 v46, v45, s18, v46
	v_add_f16_e32 v62, v62, v66
	v_add_f16_e32 v57, v57, v61
	v_fma_f16 v59, v49, s10, v58
	v_fma_f16 v58, v49, s16, v58
	v_add_f16_e32 v76, v46, v56
	v_mul_f16_e32 v46, 0xb5ac, v44
	v_add_f16_e32 v58, v58, v62
	v_add_f16_e32 v75, v47, v57
	v_fma_f16 v47, v45, s17, v46
	v_fma_f16 v46, v45, s11, v46
	v_mul_f16_e32 v44, 0x2fb7, v44
	v_add_f16_e32 v59, v59, v63
	v_add_f16_e32 v60, v60, v64
	;; [unrolled: 1-line block ×3, first 2 shown]
	v_fma_f16 v46, v45, s6, v44
	v_fma_f16 v44, v45, s14, v44
	v_add_f16_e32 v77, v47, v59
	v_add_f16_e32 v79, v46, v60
	;; [unrolled: 1-line block ×3, first 2 shown]
	s_waitcnt lgkmcnt(0)
	; wave barrier
	s_waitcnt lgkmcnt(0)
	ds_read_u16 v60, v15 offset:1352
	ds_read_u16 v58, v15 offset:1456
	;; [unrolled: 1-line block ×3, first 2 shown]
	ds_read_u16 v54, v15
	ds_read_u16 v53, v15 offset:104
	ds_read_u16 v52, v15 offset:208
	;; [unrolled: 1-line block ×20, first 2 shown]
	s_waitcnt lgkmcnt(0)
	; wave barrier
	s_waitcnt lgkmcnt(0)
	ds_write_b16 v69, v70
	ds_write_b16 v69, v67 offset:8
	ds_write_b16 v69, v71 offset:16
	;; [unrolled: 1-line block ×12, first 2 shown]
	s_and_saveexec_b64 s[4:5], s[0:1]
	s_cbranch_execz .LBB0_19
; %bb.18:
	v_add_f16_e32 v67, v9, v41
	v_add_f16_e32 v67, v67, v37
	;; [unrolled: 1-line block ×12, first 2 shown]
	v_sub_f16_e32 v40, v40, v42
	v_mul_f16_e32 v42, 0x3b15, v41
	s_movk_i32 s0, 0x3770
	s_mov_b32 s1, 0xb770
	v_mul_f16_e32 v68, 0x388b, v41
	s_movk_i32 s6, 0x3a95
	v_mul_f16_e32 v70, 0x2fb7, v41
	s_movk_i32 s10, 0x3bf1
	s_mov_b32 s11, 0xbbf1
	v_mul_f16_e32 v72, 0xb5ac, v41
	s_movk_i32 s12, 0x3b7b
	s_mov_b32 s13, 0xbb7b
	;; [unrolled: 3-line block ×4, first 2 shown]
	v_add_f16_e32 v37, v37, v39
	v_add_f16_e32 v67, v67, v43
	v_fma_f16 v43, v40, s0, v42
	v_fma_f16 v42, v40, s1, v42
	;; [unrolled: 1-line block ×12, first 2 shown]
	v_sub_f16_e32 v36, v36, v38
	v_mul_f16_e32 v38, 0x388b, v37
	v_add_f16_e32 v43, v9, v43
	v_add_f16_e32 v42, v9, v42
	;; [unrolled: 1-line block ×12, first 2 shown]
	v_fma_f16 v39, v36, s6, v38
	v_fma_f16 v38, v36, s7, v38
	v_mul_f16_e32 v40, 0xb5ac, v37
	v_add_f16_e32 v38, v38, v42
	v_fma_f16 v41, v36, s12, v40
	v_fma_f16 v40, v36, s13, v40
	v_mul_f16_e32 v42, 0xbbc4, v37
	v_add_f16_e32 v39, v39, v43
	v_add_f16_e32 v40, v40, v68
	v_fma_f16 v43, v36, s16, v42
	v_fma_f16 v42, v36, s17, v42
	v_mul_f16_e32 v68, 0xb9fd, v37
	v_add_f16_e32 v41, v41, v69
	v_add_f16_e32 v42, v42, v70
	v_fma_f16 v69, v36, s15, v68
	v_fma_f16 v68, v36, s14, v68
	v_mul_f16_e32 v70, 0x2fb7, v37
	v_mul_f16_e32 v37, 0x3b15, v37
	v_add_f16_e32 v33, v33, v35
	v_add_f16_e32 v43, v43, v71
	v_add_f16_e32 v68, v68, v72
	v_fma_f16 v71, v36, s11, v70
	v_fma_f16 v70, v36, s10, v70
	v_fma_f16 v72, v36, s1, v37
	v_fma_f16 v36, v36, s0, v37
	v_sub_f16_e32 v32, v32, v34
	v_mul_f16_e32 v34, 0x2fb7, v33
	v_add_f16_e32 v9, v36, v9
	v_fma_f16 v35, v32, s10, v34
	v_fma_f16 v34, v32, s11, v34
	v_mul_f16_e32 v36, 0xbbc4, v33
	v_add_f16_e32 v34, v34, v38
	v_fma_f16 v37, v32, s16, v36
	v_fma_f16 v36, v32, s17, v36
	v_mul_f16_e32 v38, 0xb5ac, v33
	v_add_f16_e32 v35, v35, v39
	v_add_f16_e32 v36, v36, v40
	v_fma_f16 v39, v32, s13, v38
	v_fma_f16 v38, v32, s12, v38
	v_mul_f16_e32 v40, 0x3b15, v33
	v_add_f16_e32 v37, v37, v41
	v_add_f16_e32 v38, v38, v42
	v_fma_f16 v41, v32, s1, v40
	v_fma_f16 v40, v32, s0, v40
	v_mul_f16_e32 v42, 0x388b, v33
	v_mul_f16_e32 v33, 0xb9fd, v33
	v_add_f16_e32 v29, v29, v31
	v_add_f16_e32 v39, v39, v43
	v_add_f16_e32 v40, v40, v68
	v_fma_f16 v43, v32, s6, v42
	v_fma_f16 v42, v32, s7, v42
	v_fma_f16 v68, v32, s14, v33
	v_fma_f16 v32, v32, s15, v33
	v_sub_f16_e32 v28, v28, v30
	v_mul_f16_e32 v30, 0xb5ac, v29
	v_add_f16_e32 v9, v32, v9
	;; [unrolled: 28-line block ×4, first 2 shown]
	v_fma_f16 v22, v10, s16, v21
	v_fma_f16 v21, v10, s17, v21
	v_mul_f16_e32 v23, 0x3b15, v11
	v_add_f16_e32 v69, v69, v73
	v_add_f16_e32 v71, v71, v75
	;; [unrolled: 1-line block ×5, first 2 shown]
	v_fma_f16 v24, v10, s1, v23
	v_fma_f16 v23, v10, s0, v23
	v_mul_f16_e32 v26, 0xb9fd, v11
	v_add_f16_e32 v41, v41, v69
	v_add_f16_e32 v43, v43, v71
	;; [unrolled: 1-line block ×6, first 2 shown]
	v_fma_f16 v27, v10, s14, v26
	v_fma_f16 v26, v10, s15, v26
	v_mul_f16_e32 v28, 0x388b, v11
	v_mul_u32_u24_e32 v8, 52, v8
	v_add_f16_e32 v37, v37, v41
	v_add_f16_e32 v39, v39, v43
	;; [unrolled: 1-line block ×6, first 2 shown]
	v_fma_f16 v29, v10, s7, v28
	v_fma_f16 v28, v10, s6, v28
	v_mul_f16_e32 v30, 0xb5ac, v11
	v_mul_f16_e32 v11, 0x2fb7, v11
	v_or_b32_e32 v1, v8, v1
	v_add_f16_e32 v33, v33, v37
	v_add_f16_e32 v35, v35, v39
	;; [unrolled: 1-line block ×6, first 2 shown]
	v_fma_f16 v31, v10, s12, v30
	v_fma_f16 v30, v10, s13, v30
	;; [unrolled: 1-line block ×4, first 2 shown]
	v_lshl_add_u32 v1, v1, 1, 0
	v_add_f16_e32 v29, v29, v33
	v_add_f16_e32 v31, v31, v35
	;; [unrolled: 1-line block ×5, first 2 shown]
	ds_write_b16 v1, v67
	ds_write_b16 v1, v22 offset:8
	ds_write_b16 v1, v24 offset:16
	ds_write_b16 v1, v27 offset:24
	ds_write_b16 v1, v29 offset:32
	ds_write_b16 v1, v31 offset:40
	ds_write_b16 v1, v32 offset:48
	ds_write_b16 v1, v9 offset:56
	ds_write_b16 v1, v30 offset:64
	ds_write_b16 v1, v28 offset:72
	ds_write_b16 v1, v26 offset:80
	ds_write_b16 v1, v23 offset:88
	ds_write_b16 v1, v21 offset:96
.LBB0_19:
	s_or_b64 exec, exec, s[4:5]
	v_mov_b32_e32 v1, 0
	v_lshlrev_b64 v[8:9], 2, v[0:1]
	v_mov_b32_e32 v0, s9
	v_add_co_u32_e64 v10, s[0:1], s8, v8
	v_addc_co_u32_e64 v11, s[0:1], v0, v9, s[0:1]
	s_movk_i32 s0, 0x4f
	v_mul_lo_u16_sdwa v21, v20, s0 dst_sel:DWORD dst_unused:UNUSED_PAD src0_sel:BYTE_0 src1_sel:DWORD
	v_lshrrev_b16_e32 v21, 12, v21
	s_waitcnt lgkmcnt(0)
	; wave barrier
	s_waitcnt lgkmcnt(0)
	v_mul_lo_u16_e32 v21, 52, v21
	v_mul_lo_u16_sdwa v22, v7, s0 dst_sel:DWORD dst_unused:UNUSED_PAD src0_sel:BYTE_0 src1_sel:DWORD
	global_load_dword v28, v[10:11], off offset:200
	v_sub_u16_e32 v20, v20, v21
	v_lshrrev_b16_e32 v22, 12, v22
	v_and_b32_e32 v20, 0xff, v20
	v_mul_lo_u16_e32 v22, 52, v22
	s_movk_i32 s0, 0x4ec5
	v_lshlrev_b32_e32 v21, 2, v20
	v_sub_u16_e32 v7, v7, v22
	v_mul_u32_u24_sdwa v23, v19, s0 dst_sel:DWORD dst_unused:UNUSED_PAD src0_sel:WORD_0 src1_sel:DWORD
	v_and_b32_e32 v7, 0xff, v7
	v_lshrrev_b32_e32 v24, 20, v23
	global_load_dword v21, v21, s[8:9] offset:200
	v_lshlrev_b32_e32 v22, 2, v7
	global_load_dword v22, v22, s[8:9] offset:200
	v_mul_lo_u16_e32 v24, 52, v24
	v_mul_u32_u24_sdwa v27, v18, s0 dst_sel:DWORD dst_unused:UNUSED_PAD src0_sel:WORD_0 src1_sel:DWORD
	v_sub_u16_e32 v24, v19, v24
	v_lshrrev_b32_e32 v29, 20, v27
	v_lshlrev_b32_e32 v26, 2, v24
	global_load_dword v26, v26, s[8:9] offset:200
	v_mul_lo_u16_e32 v29, 52, v29
	v_sub_u16_e32 v29, v18, v29
	v_mul_u32_u24_sdwa v31, v17, s0 dst_sel:DWORD dst_unused:UNUSED_PAD src0_sel:WORD_0 src1_sel:DWORD
	v_lshlrev_b32_e32 v30, 2, v29
	global_load_dword v30, v30, s[8:9] offset:200
	v_lshrrev_b32_e32 v32, 20, v31
	v_mul_u32_u24_sdwa v34, v16, s0 dst_sel:DWORD dst_unused:UNUSED_PAD src0_sel:WORD_0 src1_sel:DWORD
	v_mul_u32_u24_sdwa v37, v5, s0 dst_sel:DWORD dst_unused:UNUSED_PAD src0_sel:WORD_0 src1_sel:DWORD
	v_mul_lo_u16_e32 v32, 52, v32
	v_lshrrev_b32_e32 v35, 20, v34
	v_lshrrev_b32_e32 v37, 20, v37
	v_sub_u16_e32 v32, v17, v32
	v_mul_lo_u16_e32 v35, 52, v35
	v_mul_lo_u16_e32 v37, 52, v37
	v_lshlrev_b32_e32 v33, 2, v32
	v_sub_u16_e32 v35, v16, v35
	v_sub_u16_e32 v5, v5, v37
	v_lshlrev_b32_e32 v36, 2, v35
	v_lshlrev_b32_e32 v37, 2, v5
	global_load_dword v38, v33, s[8:9] offset:200
	global_load_dword v39, v36, s[8:9] offset:200
	;; [unrolled: 1-line block ×3, first 2 shown]
	v_mul_u32_u24_sdwa v33, v14, s0 dst_sel:DWORD dst_unused:UNUSED_PAD src0_sel:WORD_0 src1_sel:DWORD
	v_lshrrev_b32_e32 v33, 20, v33
	v_mul_lo_u16_e32 v33, 52, v33
	v_mul_u32_u24_sdwa v37, v13, s0 dst_sel:DWORD dst_unused:UNUSED_PAD src0_sel:WORD_0 src1_sel:DWORD
	v_sub_u16_e32 v33, v14, v33
	v_lshrrev_b32_e32 v37, 20, v37
	v_lshlrev_b32_e32 v36, 2, v33
	v_mul_lo_u16_e32 v37, 52, v37
	v_mul_u32_u24_sdwa v42, v12, s0 dst_sel:DWORD dst_unused:UNUSED_PAD src0_sel:WORD_0 src1_sel:DWORD
	v_sub_u16_e32 v37, v13, v37
	global_load_dword v36, v36, s[8:9] offset:200
	v_lshrrev_b32_e32 v42, 20, v42
	v_lshlrev_b32_e32 v41, 2, v37
	global_load_dword v41, v41, s[8:9] offset:200
	v_mul_lo_u16_e32 v42, 52, v42
	v_sub_u16_e32 v42, v12, v42
	v_lshlrev_b32_e32 v43, 2, v42
	global_load_dword v43, v43, s[8:9] offset:200
	ds_read_u16 v67, v15 offset:1352
	ds_read_u16 v68, v15 offset:1456
	;; [unrolled: 1-line block ×3, first 2 shown]
	ds_read_u16 v70, v15
	ds_read_u16 v71, v15 offset:104
	ds_read_u16 v72, v15 offset:208
	ds_read_u16 v73, v15 offset:312
	ds_read_u16 v74, v15 offset:416
	ds_read_u16 v75, v15 offset:520
	ds_read_u16 v76, v15 offset:624
	ds_read_u16 v77, v15 offset:728
	ds_read_u16 v78, v15 offset:832
	ds_read_u16 v79, v15 offset:936
	ds_read_u16 v80, v15 offset:1040
	ds_read_u16 v81, v15 offset:1248
	ds_read_u16 v82, v15 offset:1144
	ds_read_u16 v83, v15 offset:1664
	ds_read_u16 v84, v15 offset:1768
	ds_read_u16 v85, v15 offset:1872
	ds_read_u16 v86, v15 offset:1976
	ds_read_u16 v87, v15 offset:2080
	ds_read_u16 v88, v15 offset:2184
	ds_read_u16 v89, v15 offset:2288
	ds_read_u16 v90, v15 offset:2392
	v_lshl_add_u32 v20, v20, 1, 0
	v_lshl_add_u32 v7, v7, 1, 0
	;; [unrolled: 1-line block ×10, first 2 shown]
	s_waitcnt lgkmcnt(0)
	; wave barrier
	s_waitcnt vmcnt(10) lgkmcnt(0)
	v_mul_f16_sdwa v91, v81, v28 dst_sel:DWORD dst_unused:UNUSED_PAD src0_sel:DWORD src1_sel:WORD_1
	v_fma_f16 v91, v66, v28, v91
	v_mul_f16_sdwa v66, v66, v28 dst_sel:DWORD dst_unused:UNUSED_PAD src0_sel:DWORD src1_sel:WORD_1
	v_fma_f16 v66, v81, v28, -v66
	v_mul_f16_sdwa v81, v67, v28 dst_sel:DWORD dst_unused:UNUSED_PAD src0_sel:DWORD src1_sel:WORD_1
	v_fma_f16 v81, v60, v28, v81
	v_mul_f16_sdwa v60, v60, v28 dst_sel:DWORD dst_unused:UNUSED_PAD src0_sel:DWORD src1_sel:WORD_1
	v_fma_f16 v28, v67, v28, -v60
	v_sub_f16_e32 v66, v70, v66
	v_fma_f16 v67, v70, 2.0, -v66
	v_sub_f16_e32 v28, v71, v28
	s_waitcnt vmcnt(9)
	v_mul_f16_sdwa v60, v68, v21 dst_sel:DWORD dst_unused:UNUSED_PAD src0_sel:DWORD src1_sel:WORD_1
	v_fma_f16 v60, v58, v21, v60
	v_mul_f16_sdwa v58, v58, v21 dst_sel:DWORD dst_unused:UNUSED_PAD src0_sel:DWORD src1_sel:WORD_1
	v_fma_f16 v21, v68, v21, -v58
	s_waitcnt vmcnt(8)
	v_mul_f16_sdwa v58, v69, v22 dst_sel:DWORD dst_unused:UNUSED_PAD src0_sel:DWORD src1_sel:WORD_1
	v_fma_f16 v58, v57, v22, v58
	v_mul_f16_sdwa v57, v57, v22 dst_sel:DWORD dst_unused:UNUSED_PAD src0_sel:DWORD src1_sel:WORD_1
	v_fma_f16 v22, v69, v22, -v57
	;; [unrolled: 5-line block ×3, first 2 shown]
	v_sub_f16_e32 v68, v53, v81
	s_waitcnt vmcnt(6)
	v_mul_f16_sdwa v65, v84, v30 dst_sel:DWORD dst_unused:UNUSED_PAD src0_sel:DWORD src1_sel:WORD_1
	v_fma_f16 v65, v64, v30, v65
	v_mul_f16_sdwa v64, v64, v30 dst_sel:DWORD dst_unused:UNUSED_PAD src0_sel:DWORD src1_sel:WORD_1
	v_fma_f16 v30, v84, v30, -v64
	v_sub_f16_e32 v60, v52, v60
	v_sub_f16_e32 v58, v51, v58
	;; [unrolled: 1-line block ×4, first 2 shown]
	v_fma_f16 v53, v53, 2.0, -v68
	v_sub_f16_e32 v21, v72, v21
	v_fma_f16 v52, v52, 2.0, -v60
	v_sub_f16_e32 v22, v73, v22
	v_fma_f16 v51, v51, 2.0, -v58
	s_waitcnt vmcnt(5)
	v_mul_f16_sdwa v64, v85, v38 dst_sel:DWORD dst_unused:UNUSED_PAD src0_sel:DWORD src1_sel:WORD_1
	v_fma_f16 v64, v63, v38, v64
	v_mul_f16_sdwa v63, v63, v38 dst_sel:DWORD dst_unused:UNUSED_PAD src0_sel:DWORD src1_sel:WORD_1
	v_fma_f16 v38, v85, v38, -v63
	s_waitcnt vmcnt(4)
	v_mul_f16_sdwa v63, v86, v39 dst_sel:DWORD dst_unused:UNUSED_PAD src0_sel:DWORD src1_sel:WORD_1
	v_fma_f16 v63, v62, v39, v63
	v_mul_f16_sdwa v62, v62, v39 dst_sel:DWORD dst_unused:UNUSED_PAD src0_sel:DWORD src1_sel:WORD_1
	v_fma_f16 v39, v86, v39, -v62
	s_waitcnt vmcnt(3)
	v_mul_f16_sdwa v62, v87, v40 dst_sel:DWORD dst_unused:UNUSED_PAD src0_sel:DWORD src1_sel:WORD_1
	v_fma_f16 v62, v61, v40, v62
	v_mul_f16_sdwa v61, v61, v40 dst_sel:DWORD dst_unused:UNUSED_PAD src0_sel:DWORD src1_sel:WORD_1
	v_fma_f16 v40, v87, v40, -v61
	v_sub_f16_e32 v64, v48, v64
	s_waitcnt vmcnt(2)
	v_mul_f16_sdwa v61, v88, v36 dst_sel:DWORD dst_unused:UNUSED_PAD src0_sel:DWORD src1_sel:WORD_1
	v_fma_f16 v61, v59, v36, v61
	v_mul_f16_sdwa v59, v59, v36 dst_sel:DWORD dst_unused:UNUSED_PAD src0_sel:DWORD src1_sel:WORD_1
	v_fma_f16 v36, v88, v36, -v59
	s_waitcnt vmcnt(1)
	v_mul_f16_sdwa v59, v89, v41 dst_sel:DWORD dst_unused:UNUSED_PAD src0_sel:DWORD src1_sel:WORD_1
	v_fma_f16 v59, v56, v41, v59
	v_mul_f16_sdwa v56, v56, v41 dst_sel:DWORD dst_unused:UNUSED_PAD src0_sel:DWORD src1_sel:WORD_1
	v_fma_f16 v41, v89, v41, -v56
	;; [unrolled: 5-line block ×3, first 2 shown]
	v_sub_f16_e32 v55, v54, v91
	v_sub_f16_e32 v63, v47, v63
	;; [unrolled: 1-line block ×6, first 2 shown]
	v_fma_f16 v54, v54, 2.0, -v55
	v_sub_f16_e32 v26, v74, v26
	v_fma_f16 v50, v50, 2.0, -v57
	v_sub_f16_e32 v30, v75, v30
	;; [unrolled: 2-line block ×8, first 2 shown]
	v_fma_f16 v25, v25, 2.0, -v56
	v_fma_f16 v69, v71, 2.0, -v28
	;; [unrolled: 1-line block ×12, first 2 shown]
	ds_write_b16 v15, v54
	ds_write_b16 v15, v55 offset:104
	ds_write_b16 v15, v53 offset:208
	ds_write_b16 v15, v68 offset:312
	ds_write_b16 v20, v52 offset:416
	ds_write_b16 v20, v60 offset:520
	ds_write_b16 v7, v51 offset:624
	ds_write_b16 v7, v58 offset:728
	ds_write_b16 v24, v50 offset:832
	ds_write_b16 v24, v57 offset:936
	ds_write_b16 v29, v49 offset:1040
	ds_write_b16 v29, v65 offset:1144
	ds_write_b16 v32, v48 offset:1248
	ds_write_b16 v32, v64 offset:1352
	ds_write_b16 v35, v47 offset:1456
	ds_write_b16 v35, v63 offset:1560
	ds_write_b16 v5, v46 offset:1664
	ds_write_b16 v5, v62 offset:1768
	ds_write_b16 v33, v45 offset:1872
	ds_write_b16 v33, v61 offset:1976
	ds_write_b16 v37, v44 offset:2080
	ds_write_b16 v37, v59 offset:2184
	ds_write_b16 v42, v25 offset:2288
	ds_write_b16 v42, v56 offset:2392
	s_waitcnt lgkmcnt(0)
	; wave barrier
	s_waitcnt lgkmcnt(0)
	ds_read_u16 v25, v15
	ds_read_u16 v44, v15 offset:104
	ds_read_u16 v45, v15 offset:208
	;; [unrolled: 1-line block ×23, first 2 shown]
	s_waitcnt lgkmcnt(0)
	; wave barrier
	s_waitcnt lgkmcnt(0)
	ds_write_b16 v15, v67
	ds_write_b16 v15, v66 offset:104
	ds_write_b16 v15, v69 offset:208
	;; [unrolled: 1-line block ×23, first 2 shown]
	v_mov_b32_e32 v5, v1
	v_lshlrev_b64 v[4:5], 2, v[4:5]
	v_mov_b32_e32 v7, v1
	v_add_co_u32_e64 v4, s[0:1], s8, v4
	v_addc_co_u32_e64 v5, s[0:1], v0, v5, s[0:1]
	s_waitcnt lgkmcnt(0)
	; wave barrier
	s_waitcnt lgkmcnt(0)
	global_load_dwordx2 v[4:5], v[4:5], off offset:408
	v_lshlrev_b64 v[6:7], 2, v[6:7]
	v_lshrrev_b32_e32 v21, 21, v27
	v_add_co_u32_e64 v6, s[0:1], s8, v6
	v_addc_co_u32_e64 v7, s[0:1], v0, v7, s[0:1]
	global_load_dwordx2 v[6:7], v[6:7], off offset:408
	v_lshrrev_b32_e32 v0, 21, v23
	v_mul_lo_u16_e32 v0, 0x68, v0
	v_sub_u16_e32 v0, v19, v0
	v_lshrrev_b32_e32 v23, 21, v34
	v_lshlrev_b32_e32 v19, 3, v0
	v_mul_lo_u16_e32 v21, 0x68, v21
	v_mul_lo_u16_e32 v23, 0x68, v23
	global_load_dwordx2 v[19:20], v19, s[8:9] offset:408
	v_sub_u16_e32 v26, v18, v21
	v_sub_u16_e32 v16, v16, v23
	v_lshlrev_b32_e32 v18, 3, v26
	v_lshlrev_b32_e32 v23, 3, v16
	global_load_dwordx2 v[21:22], v18, s[8:9] offset:408
	s_mov_b32 s0, 0xbaee
	global_load_dwordx2 v[23:24], v23, s[8:9] offset:408
	v_lshrrev_b32_e32 v18, 21, v31
	v_mul_lo_u16_e32 v18, 0x68, v18
	v_sub_u16_e32 v27, v17, v18
	v_lshlrev_b32_e32 v17, 3, v27
	global_load_dwordx2 v[17:18], v17, s[8:9] offset:408
	ds_read_u16 v28, v15
	ds_read_u16 v29, v15 offset:104
	ds_read_u16 v30, v15 offset:208
	;; [unrolled: 1-line block ×23, first 2 shown]
	s_movk_i32 s1, 0x3aee
	v_lshl_add_u32 v0, v0, 1, 0
	s_waitcnt lgkmcnt(0)
	; wave barrier
	s_waitcnt lgkmcnt(0)
	v_lshl_add_u32 v16, v16, 1, 0
	s_waitcnt vmcnt(5)
	v_mul_f16_sdwa v75, v36, v4 dst_sel:DWORD dst_unused:UNUSED_PAD src0_sel:DWORD src1_sel:WORD_1
	v_fma_f16 v75, v51, v4, v75
	v_mul_f16_sdwa v51, v51, v4 dst_sel:DWORD dst_unused:UNUSED_PAD src0_sel:DWORD src1_sel:WORD_1
	v_fma_f16 v36, v36, v4, -v51
	v_mul_f16_sdwa v51, v66, v5 dst_sel:DWORD dst_unused:UNUSED_PAD src0_sel:DWORD src1_sel:WORD_1
	v_fma_f16 v51, v59, v5, v51
	v_mul_f16_sdwa v59, v59, v5 dst_sel:DWORD dst_unused:UNUSED_PAD src0_sel:DWORD src1_sel:WORD_1
	v_fma_f16 v59, v66, v5, -v59
	s_waitcnt vmcnt(4)
	v_mul_f16_sdwa v66, v37, v6 dst_sel:DWORD dst_unused:UNUSED_PAD src0_sel:DWORD src1_sel:WORD_1
	v_fma_f16 v66, v52, v6, v66
	v_mul_f16_sdwa v52, v52, v6 dst_sel:DWORD dst_unused:UNUSED_PAD src0_sel:DWORD src1_sel:WORD_1
	v_fma_f16 v37, v37, v6, -v52
	v_mul_f16_sdwa v52, v67, v7 dst_sel:DWORD dst_unused:UNUSED_PAD src0_sel:DWORD src1_sel:WORD_1
	v_fma_f16 v52, v60, v7, v52
	v_mul_f16_sdwa v60, v60, v7 dst_sel:DWORD dst_unused:UNUSED_PAD src0_sel:DWORD src1_sel:WORD_1
	v_fma_f16 v60, v67, v7, -v60
	;; [unrolled: 4-line block ×3, first 2 shown]
	v_mul_f16_sdwa v38, v69, v5 dst_sel:DWORD dst_unused:UNUSED_PAD src0_sel:DWORD src1_sel:WORD_1
	v_mul_f16_sdwa v53, v61, v5 dst_sel:DWORD dst_unused:UNUSED_PAD src0_sel:DWORD src1_sel:WORD_1
	v_fma_f16 v38, v61, v5, v38
	v_fma_f16 v5, v69, v5, -v53
	v_mul_f16_sdwa v53, v39, v6 dst_sel:DWORD dst_unused:UNUSED_PAD src0_sel:DWORD src1_sel:WORD_1
	v_fma_f16 v53, v54, v6, v53
	v_mul_f16_sdwa v54, v54, v6 dst_sel:DWORD dst_unused:UNUSED_PAD src0_sel:DWORD src1_sel:WORD_1
	v_fma_f16 v6, v39, v6, -v54
	v_mul_f16_sdwa v39, v70, v7 dst_sel:DWORD dst_unused:UNUSED_PAD src0_sel:DWORD src1_sel:WORD_1
	v_mul_f16_sdwa v54, v62, v7 dst_sel:DWORD dst_unused:UNUSED_PAD src0_sel:DWORD src1_sel:WORD_1
	v_fma_f16 v39, v62, v7, v39
	v_fma_f16 v7, v70, v7, -v54
	s_waitcnt vmcnt(3)
	v_mul_f16_sdwa v54, v40, v19 dst_sel:DWORD dst_unused:UNUSED_PAD src0_sel:DWORD src1_sel:WORD_1
	v_fma_f16 v54, v55, v19, v54
	v_mul_f16_sdwa v55, v55, v19 dst_sel:DWORD dst_unused:UNUSED_PAD src0_sel:DWORD src1_sel:WORD_1
	v_fma_f16 v19, v40, v19, -v55
	v_mul_f16_sdwa v40, v71, v20 dst_sel:DWORD dst_unused:UNUSED_PAD src0_sel:DWORD src1_sel:WORD_1
	v_mul_f16_sdwa v55, v63, v20 dst_sel:DWORD dst_unused:UNUSED_PAD src0_sel:DWORD src1_sel:WORD_1
	v_fma_f16 v40, v63, v20, v40
	v_fma_f16 v20, v71, v20, -v55
	s_waitcnt vmcnt(2)
	;; [unrolled: 9-line block ×3, first 2 shown]
	v_mul_f16_sdwa v56, v42, v17 dst_sel:DWORD dst_unused:UNUSED_PAD src0_sel:DWORD src1_sel:WORD_1
	v_fma_f16 v56, v57, v17, v56
	v_mul_f16_sdwa v57, v57, v17 dst_sel:DWORD dst_unused:UNUSED_PAD src0_sel:DWORD src1_sel:WORD_1
	v_fma_f16 v17, v42, v17, -v57
	v_mul_f16_sdwa v42, v73, v18 dst_sel:DWORD dst_unused:UNUSED_PAD src0_sel:DWORD src1_sel:WORD_1
	v_mul_f16_sdwa v57, v65, v18 dst_sel:DWORD dst_unused:UNUSED_PAD src0_sel:DWORD src1_sel:WORD_1
	v_fma_f16 v42, v65, v18, v42
	v_fma_f16 v18, v73, v18, -v57
	v_mul_f16_sdwa v57, v43, v23 dst_sel:DWORD dst_unused:UNUSED_PAD src0_sel:DWORD src1_sel:WORD_1
	v_fma_f16 v57, v58, v23, v57
	v_mul_f16_sdwa v58, v58, v23 dst_sel:DWORD dst_unused:UNUSED_PAD src0_sel:DWORD src1_sel:WORD_1
	v_fma_f16 v23, v43, v23, -v58
	v_mul_f16_sdwa v43, v74, v24 dst_sel:DWORD dst_unused:UNUSED_PAD src0_sel:DWORD src1_sel:WORD_1
	v_mul_f16_sdwa v58, v68, v24 dst_sel:DWORD dst_unused:UNUSED_PAD src0_sel:DWORD src1_sel:WORD_1
	v_add_f16_e32 v61, v75, v51
	v_fma_f16 v43, v68, v24, v43
	v_fma_f16 v24, v74, v24, -v58
	v_add_f16_e32 v58, v25, v75
	v_fma_f16 v25, v61, -0.5, v25
	v_sub_f16_e32 v61, v36, v59
	v_fma_f16 v62, v61, s0, v25
	v_fma_f16 v25, v61, s1, v25
	v_add_f16_e32 v61, v28, v36
	v_add_f16_e32 v36, v36, v59
	;; [unrolled: 1-line block ×3, first 2 shown]
	v_fma_f16 v28, v36, -0.5, v28
	v_sub_f16_e32 v36, v75, v51
	v_add_f16_e32 v59, v66, v52
	v_add_f16_e32 v58, v58, v51
	v_fma_f16 v51, v36, s1, v28
	v_fma_f16 v28, v36, s0, v28
	v_add_f16_e32 v36, v44, v66
	v_fma_f16 v44, v59, -0.5, v44
	v_sub_f16_e32 v59, v37, v60
	v_fma_f16 v63, v59, s0, v44
	v_fma_f16 v44, v59, s1, v44
	v_add_f16_e32 v59, v29, v37
	v_add_f16_e32 v37, v37, v60
	v_add_f16_e32 v59, v59, v60
	v_fma_f16 v29, v37, -0.5, v29
	v_sub_f16_e32 v37, v66, v52
	v_add_f16_e32 v60, v67, v38
	v_add_f16_e32 v36, v36, v52
	v_fma_f16 v52, v37, s1, v29
	v_fma_f16 v29, v37, s0, v29
	v_add_f16_e32 v37, v45, v67
	v_fma_f16 v45, v60, -0.5, v45
	v_sub_f16_e32 v60, v4, v5
	v_fma_f16 v64, v60, s0, v45
	v_fma_f16 v45, v60, s1, v45
	v_add_f16_e32 v60, v30, v4
	v_add_f16_e32 v4, v4, v5
	v_add_f16_e32 v37, v37, v38
	v_add_f16_e32 v60, v60, v5
	v_fma_f16 v4, v4, -0.5, v30
	v_sub_f16_e32 v5, v67, v38
	v_add_f16_e32 v38, v53, v39
	v_fma_f16 v30, v5, s1, v4
	v_fma_f16 v4, v5, s0, v4
	v_add_f16_e32 v5, v46, v53
	v_fma_f16 v38, v38, -0.5, v46
	v_sub_f16_e32 v46, v6, v7
	v_fma_f16 v65, v46, s0, v38
	v_fma_f16 v38, v46, s1, v38
	v_add_f16_e32 v46, v31, v6
	v_add_f16_e32 v6, v6, v7
	v_add_f16_e32 v5, v5, v39
	v_add_f16_e32 v46, v46, v7
	v_fma_f16 v6, v6, -0.5, v31
	v_sub_f16_e32 v7, v53, v39
	;; [unrolled: 14-line block ×6, first 2 shown]
	ds_write_b16 v15, v58
	ds_write_b16 v15, v62 offset:208
	ds_write_b16 v15, v25 offset:416
	;; [unrolled: 1-line block ×14, first 2 shown]
	v_lshl_add_u32 v5, v26, 1, 0
	v_lshl_add_u32 v7, v27, 1, 0
	v_fma_f16 v35, v24, s1, v23
	v_fma_f16 v23, v24, s0, v23
	ds_write_b16 v5, v20 offset:1248
	ds_write_b16 v5, v54 offset:1456
	;; [unrolled: 1-line block ×9, first 2 shown]
	s_waitcnt lgkmcnt(0)
	; wave barrier
	s_waitcnt lgkmcnt(0)
	ds_read_u16 v18, v15 offset:1352
	ds_read_u16 v20, v15 offset:1456
	;; [unrolled: 1-line block ×3, first 2 shown]
	ds_read_u16 v24, v15
	ds_read_u16 v25, v15 offset:104
	ds_read_u16 v26, v15 offset:208
	ds_read_u16 v27, v15 offset:312
	ds_read_u16 v36, v15 offset:416
	ds_read_u16 v37, v15 offset:520
	ds_read_u16 v38, v15 offset:624
	ds_read_u16 v39, v15 offset:728
	ds_read_u16 v40, v15 offset:832
	ds_read_u16 v41, v15 offset:936
	ds_read_u16 v42, v15 offset:1040
	ds_read_u16 v43, v15 offset:1248
	ds_read_u16 v44, v15 offset:1144
	ds_read_u16 v45, v15 offset:1664
	ds_read_u16 v53, v15 offset:1768
	ds_read_u16 v54, v15 offset:1872
	ds_read_u16 v55, v15 offset:1976
	ds_read_u16 v56, v15 offset:2080
	ds_read_u16 v57, v15 offset:2184
	ds_read_u16 v58, v15 offset:2288
	ds_read_u16 v62, v15 offset:2392
	s_waitcnt lgkmcnt(0)
	; wave barrier
	s_waitcnt lgkmcnt(0)
	ds_write_b16 v15, v61
	ds_write_b16 v15, v51 offset:208
	ds_write_b16 v15, v28 offset:416
	;; [unrolled: 1-line block ×23, first 2 shown]
	s_waitcnt lgkmcnt(0)
	; wave barrier
	s_waitcnt lgkmcnt(0)
	global_load_dword v0, v[10:11], off offset:1240
	global_load_dword v4, v[10:11], off offset:1448
	;; [unrolled: 1-line block ×6, first 2 shown]
	ds_read_u16 v17, v15 offset:1352
	ds_read_u16 v19, v15 offset:1456
	;; [unrolled: 1-line block ×3, first 2 shown]
	ds_read_u16 v23, v15
	ds_read_u16 v28, v15 offset:104
	ds_read_u16 v29, v15 offset:208
	;; [unrolled: 1-line block ×20, first 2 shown]
	s_waitcnt lgkmcnt(0)
	; wave barrier
	s_waitcnt vmcnt(5) lgkmcnt(0)
	v_mul_f16_sdwa v65, v48, v0 dst_sel:DWORD dst_unused:UNUSED_PAD src0_sel:DWORD src1_sel:WORD_1
	v_fma_f16 v65, v43, v0, v65
	v_mul_f16_sdwa v43, v43, v0 dst_sel:DWORD dst_unused:UNUSED_PAD src0_sel:DWORD src1_sel:WORD_1
	v_fma_f16 v43, v48, v0, -v43
	s_waitcnt vmcnt(4)
	v_mul_f16_sdwa v48, v17, v4 dst_sel:DWORD dst_unused:UNUSED_PAD src0_sel:DWORD src1_sel:WORD_1
	v_fma_f16 v48, v18, v4, v48
	v_mul_f16_sdwa v18, v18, v4 dst_sel:DWORD dst_unused:UNUSED_PAD src0_sel:DWORD src1_sel:WORD_1
	v_fma_f16 v17, v17, v4, -v18
	s_waitcnt vmcnt(3)
	;; [unrolled: 5-line block ×5, first 2 shown]
	v_mul_f16_sdwa v50, v51, v16 dst_sel:DWORD dst_unused:UNUSED_PAD src0_sel:DWORD src1_sel:WORD_1
	v_fma_f16 v50, v53, v16, v50
	v_mul_f16_sdwa v53, v53, v16 dst_sel:DWORD dst_unused:UNUSED_PAD src0_sel:DWORD src1_sel:WORD_1
	v_fma_f16 v51, v51, v16, -v53
	v_mul_f16_sdwa v53, v52, v0 dst_sel:DWORD dst_unused:UNUSED_PAD src0_sel:DWORD src1_sel:WORD_1
	v_fma_f16 v53, v54, v0, v53
	v_mul_f16_sdwa v54, v54, v0 dst_sel:DWORD dst_unused:UNUSED_PAD src0_sel:DWORD src1_sel:WORD_1
	v_fma_f16 v0, v52, v0, -v54
	v_mul_f16_sdwa v52, v59, v4 dst_sel:DWORD dst_unused:UNUSED_PAD src0_sel:DWORD src1_sel:WORD_1
	v_mul_f16_sdwa v54, v55, v4 dst_sel:DWORD dst_unused:UNUSED_PAD src0_sel:DWORD src1_sel:WORD_1
	v_fma_f16 v52, v55, v4, v52
	v_fma_f16 v4, v59, v4, -v54
	v_mul_f16_sdwa v54, v60, v5 dst_sel:DWORD dst_unused:UNUSED_PAD src0_sel:DWORD src1_sel:WORD_1
	v_mul_f16_sdwa v55, v56, v5 dst_sel:DWORD dst_unused:UNUSED_PAD src0_sel:DWORD src1_sel:WORD_1
	v_fma_f16 v54, v56, v5, v54
	v_fma_f16 v5, v60, v5, -v55
	v_mul_f16_sdwa v55, v61, v6 dst_sel:DWORD dst_unused:UNUSED_PAD src0_sel:DWORD src1_sel:WORD_1
	v_mul_f16_sdwa v56, v57, v6 dst_sel:DWORD dst_unused:UNUSED_PAD src0_sel:DWORD src1_sel:WORD_1
	v_fma_f16 v55, v57, v6, v55
	v_fma_f16 v6, v61, v6, -v56
	v_mul_f16_sdwa v56, v63, v7 dst_sel:DWORD dst_unused:UNUSED_PAD src0_sel:DWORD src1_sel:WORD_1
	v_mul_f16_sdwa v57, v58, v7 dst_sel:DWORD dst_unused:UNUSED_PAD src0_sel:DWORD src1_sel:WORD_1
	v_fma_f16 v56, v58, v7, v56
	v_fma_f16 v7, v63, v7, -v57
	v_mul_f16_sdwa v57, v64, v16 dst_sel:DWORD dst_unused:UNUSED_PAD src0_sel:DWORD src1_sel:WORD_1
	v_mul_f16_sdwa v58, v62, v16 dst_sel:DWORD dst_unused:UNUSED_PAD src0_sel:DWORD src1_sel:WORD_1
	v_sub_f16_e32 v43, v23, v43
	v_sub_f16_e32 v63, v30, v21
	v_fma_f16 v57, v62, v16, v57
	v_fma_f16 v16, v64, v16, -v58
	v_fma_f16 v59, v23, 2.0, -v43
	v_sub_f16_e32 v23, v25, v48
	v_sub_f16_e32 v48, v28, v17
	;; [unrolled: 1-line block ×3, first 2 shown]
	v_fma_f16 v64, v30, 2.0, -v63
	v_sub_f16_e32 v22, v36, v22
	v_sub_f16_e32 v45, v31, v45
	;; [unrolled: 1-line block ×3, first 2 shown]
	v_fma_f16 v17, v25, 2.0, -v23
	v_fma_f16 v60, v28, 2.0, -v48
	v_sub_f16_e32 v61, v29, v19
	v_fma_f16 v19, v26, 2.0, -v18
	v_sub_f16_e32 v20, v27, v20
	v_fma_f16 v25, v36, 2.0, -v22
	v_fma_f16 v36, v31, 2.0, -v45
	v_sub_f16_e32 v26, v37, v50
	v_sub_f16_e32 v50, v32, v51
	;; [unrolled: 1-line block ×5, first 2 shown]
	v_fma_f16 v5, v40, 2.0, -v30
	v_sub_f16_e32 v31, v41, v55
	v_sub_f16_e32 v40, v46, v6
	;; [unrolled: 1-line block ×3, first 2 shown]
	v_fma_f16 v62, v29, 2.0, -v61
	v_fma_f16 v21, v27, 2.0, -v20
	;; [unrolled: 1-line block ×6, first 2 shown]
	v_sub_f16_e32 v29, v39, v52
	v_fma_f16 v6, v41, 2.0, -v31
	v_fma_f16 v41, v46, 2.0, -v40
	v_sub_f16_e32 v32, v42, v56
	v_sub_f16_e32 v46, v47, v7
	;; [unrolled: 1-line block ×3, first 2 shown]
	v_fma_f16 v24, v24, 2.0, -v58
	v_sub_f16_e32 v52, v34, v4
	v_fma_f16 v4, v39, 2.0, -v29
	v_fma_f16 v7, v42, 2.0, -v32
	;; [unrolled: 1-line block ×3, first 2 shown]
	v_sub_f16_e32 v47, v49, v16
	v_fma_f16 v16, v44, 2.0, -v33
	v_fma_f16 v39, v34, 2.0, -v52
	ds_write_b16 v15, v24
	ds_write_b16 v15, v58 offset:624
	ds_write_b16 v15, v17 offset:104
	;; [unrolled: 1-line block ×23, first 2 shown]
	s_waitcnt lgkmcnt(0)
	; wave barrier
	s_waitcnt lgkmcnt(0)
	ds_read_u16 v4, v15 offset:1352
	ds_read_u16 v7, v15 offset:1456
	;; [unrolled: 1-line block ×3, first 2 shown]
	ds_read_u16 v0, v15
	ds_read_u16 v5, v15 offset:104
	ds_read_u16 v16, v15 offset:208
	ds_read_u16 v18, v15 offset:312
	ds_read_u16 v19, v15 offset:416
	ds_read_u16 v20, v15 offset:520
	ds_read_u16 v26, v15 offset:624
	ds_read_u16 v28, v15 offset:728
	ds_read_u16 v22, v15 offset:832
	ds_read_u16 v24, v15 offset:936
	ds_read_u16 v25, v15 offset:1040
	ds_read_u16 v6, v15 offset:1248
	ds_read_u16 v27, v15 offset:1144
	ds_read_u16 v21, v15 offset:1664
	ds_read_u16 v23, v15 offset:1768
	ds_read_u16 v33, v15 offset:1872
	ds_read_u16 v34, v15 offset:1976
	ds_read_u16 v29, v15 offset:2080
	ds_read_u16 v30, v15 offset:2184
	ds_read_u16 v31, v15 offset:2288
	ds_read_u16 v32, v15 offset:2392
	v_fma_f16 v35, v35, 2.0, -v53
	v_fma_f16 v44, v49, 2.0, -v47
	s_waitcnt lgkmcnt(0)
	; wave barrier
	s_waitcnt lgkmcnt(0)
	ds_write_b16 v15, v59
	ds_write_b16 v15, v43 offset:624
	ds_write_b16 v15, v60 offset:104
	;; [unrolled: 1-line block ×23, first 2 shown]
	s_waitcnt lgkmcnt(0)
	; wave barrier
	s_waitcnt lgkmcnt(0)
	s_and_saveexec_b64 s[0:1], vcc
	s_cbranch_execz .LBB0_21
; %bb.20:
	v_add_co_u32_e32 v35, vcc, 0x1000, v10
	v_addc_co_u32_e32 v36, vcc, 0, v11, vcc
	global_load_dword v37, v[10:11], off offset:3944
	global_load_dword v38, v[10:11], off offset:3736
	;; [unrolled: 1-line block ×7, first 2 shown]
	v_add_co_u32_e32 v2, vcc, s2, v2
	global_load_dword v35, v[10:11], off offset:3320
	ds_read_u16 v36, v15 offset:1560
	ds_read_u16 v44, v15 offset:1456
	;; [unrolled: 1-line block ×8, first 2 shown]
	global_load_dword v51, v[10:11], off offset:3112
	ds_read_u16 v52, v15 offset:2392
	ds_read_u16 v53, v15 offset:2288
	;; [unrolled: 1-line block ×8, first 2 shown]
	global_load_dword v60, v[10:11], off offset:2904
	global_load_dword v61, v[10:11], off offset:2696
	;; [unrolled: 1-line block ×3, first 2 shown]
	ds_read_u16 v66, v15 offset:728
	ds_read_u16 v69, v15 offset:624
	;; [unrolled: 1-line block ×3, first 2 shown]
	s_mov_b32 s1, 0x1a41a41b
	s_movk_i32 s0, 0x1000
	s_waitcnt vmcnt(11) lgkmcnt(6)
	v_mul_f16_sdwa v10, v37, v56 dst_sel:DWORD dst_unused:UNUSED_PAD src0_sel:WORD_1 src1_sel:DWORD
	v_mul_f16_sdwa v11, v34, v37 dst_sel:DWORD dst_unused:UNUSED_PAD src0_sel:DWORD src1_sel:WORD_1
	s_waitcnt vmcnt(10) lgkmcnt(5)
	v_mul_f16_sdwa v63, v38, v57 dst_sel:DWORD dst_unused:UNUSED_PAD src0_sel:WORD_1 src1_sel:DWORD
	v_mul_f16_sdwa v64, v33, v38 dst_sel:DWORD dst_unused:UNUSED_PAD src0_sel:DWORD src1_sel:WORD_1
	v_fma_f16 v10, v34, v37, v10
	v_fma_f16 v11, v37, v56, -v11
	v_fma_f16 v33, v33, v38, v63
	v_fma_f16 v34, v38, v57, -v64
	s_waitcnt vmcnt(8)
	v_mul_f16_sdwa v37, v40, v52 dst_sel:DWORD dst_unused:UNUSED_PAD src0_sel:WORD_1 src1_sel:DWORD
	v_mul_f16_sdwa v38, v32, v40 dst_sel:DWORD dst_unused:UNUSED_PAD src0_sel:DWORD src1_sel:WORD_1
	s_waitcnt vmcnt(7)
	v_mul_f16_sdwa v56, v41, v53 dst_sel:DWORD dst_unused:UNUSED_PAD src0_sel:WORD_1 src1_sel:DWORD
	v_mul_f16_sdwa v57, v31, v41 dst_sel:DWORD dst_unused:UNUSED_PAD src0_sel:DWORD src1_sel:WORD_1
	s_waitcnt vmcnt(5)
	v_mul_f16_sdwa v68, v29, v43 dst_sel:DWORD dst_unused:UNUSED_PAD src0_sel:DWORD src1_sel:WORD_1
	v_mul_f16_sdwa v67, v43, v55 dst_sel:DWORD dst_unused:UNUSED_PAD src0_sel:WORD_1 src1_sel:DWORD
	v_fma_f16 v32, v32, v40, v37
	v_fma_f16 v37, v40, v52, -v38
	v_fma_f16 v31, v31, v41, v56
	v_fma_f16 v38, v41, v53, -v57
	v_fma_f16 v41, v43, v55, -v68
	s_waitcnt vmcnt(3)
	v_mul_f16_sdwa v55, v51, v36 dst_sel:DWORD dst_unused:UNUSED_PAD src0_sel:WORD_1 src1_sel:DWORD
	v_mul_f16_sdwa v64, v30, v42 dst_sel:DWORD dst_unused:UNUSED_PAD src0_sel:DWORD src1_sel:WORD_1
	v_fma_f16 v55, v17, v51, v55
	v_mul_f16_sdwa v17, v17, v51 dst_sel:DWORD dst_unused:UNUSED_PAD src0_sel:DWORD src1_sel:WORD_1
	s_waitcnt lgkmcnt(4)
	v_mul_f16_sdwa v65, v39, v58 dst_sel:DWORD dst_unused:UNUSED_PAD src0_sel:WORD_1 src1_sel:DWORD
	v_mul_f16_sdwa v63, v42, v54 dst_sel:DWORD dst_unused:UNUSED_PAD src0_sel:WORD_1 src1_sel:DWORD
	v_fma_f16 v40, v42, v54, -v64
	s_waitcnt lgkmcnt(3)
	v_mul_f16_sdwa v54, v35, v59 dst_sel:DWORD dst_unused:UNUSED_PAD src0_sel:WORD_1 src1_sel:DWORD
	v_fma_f16 v17, v51, v36, -v17
	s_waitcnt vmcnt(2)
	v_mul_f16_sdwa v51, v60, v44 dst_sel:DWORD dst_unused:UNUSED_PAD src0_sel:WORD_1 src1_sel:DWORD
	v_fma_f16 v52, v23, v39, v65
	v_mul_f16_sdwa v23, v23, v39 dst_sel:DWORD dst_unused:UNUSED_PAD src0_sel:DWORD src1_sel:WORD_1
	v_fma_f16 v54, v21, v35, v54
	v_mul_f16_sdwa v21, v21, v35 dst_sel:DWORD dst_unused:UNUSED_PAD src0_sel:DWORD src1_sel:WORD_1
	;; [unrolled: 2-line block ×3, first 2 shown]
	v_fma_f16 v23, v39, v58, -v23
	ds_read_u16 v39, v15 offset:416
	v_fma_f16 v21, v35, v59, -v21
	ds_read_u16 v35, v15 offset:312
	ds_read_u16 v36, v15 offset:208
	v_fma_f16 v7, v60, v44, -v7
	ds_read_u16 v44, v15 offset:104
	s_waitcnt vmcnt(1)
	v_mul_f16_sdwa v56, v61, v45 dst_sel:DWORD dst_unused:UNUSED_PAD src0_sel:WORD_1 src1_sel:DWORD
	ds_read_u16 v15, v15
	v_fma_f16 v56, v4, v61, v56
	v_mul_f16_sdwa v4, v4, v61 dst_sel:DWORD dst_unused:UNUSED_PAD src0_sel:DWORD src1_sel:WORD_1
	v_fma_f16 v4, v61, v45, -v4
	s_waitcnt vmcnt(0)
	v_mul_f16_sdwa v45, v62, v46 dst_sel:DWORD dst_unused:UNUSED_PAD src0_sel:WORD_1 src1_sel:DWORD
	v_fma_f16 v45, v6, v62, v45
	v_mul_f16_sdwa v6, v6, v62 dst_sel:DWORD dst_unused:UNUSED_PAD src0_sel:DWORD src1_sel:WORD_1
	v_fma_f16 v6, v62, v46, -v6
	v_mov_b32_e32 v46, s3
	v_sub_f16_e32 v45, v0, v45
	s_waitcnt lgkmcnt(0)
	v_sub_f16_e32 v6, v15, v6
	v_addc_co_u32_e32 v3, vcc, v46, v3, vcc
	v_fma_f16 v0, v0, 2.0, -v45
	v_fma_f16 v15, v15, 2.0, -v6
	v_add_co_u32_e32 v2, vcc, v2, v8
	v_sub_f16_e32 v56, v5, v56
	v_sub_f16_e32 v4, v44, v4
	v_addc_co_u32_e32 v3, vcc, v3, v9, vcc
	v_pack_b32_f16 v0, v0, v15
	v_fma_f16 v5, v5, 2.0, -v56
	v_fma_f16 v44, v44, 2.0, -v4
	global_store_dword v[2:3], v0, off
	v_pack_b32_f16 v0, v45, v6
	v_sub_f16_e32 v51, v16, v51
	v_sub_f16_e32 v7, v36, v7
	global_store_dword v[2:3], v0, off offset:2496
	v_pack_b32_f16 v0, v5, v44
	v_fma_f16 v16, v16, 2.0, -v51
	v_fma_f16 v36, v36, 2.0, -v7
	global_store_dword v[2:3], v0, off offset:208
	v_pack_b32_f16 v0, v56, v4
	v_sub_f16_e32 v55, v18, v55
	v_sub_f16_e32 v17, v35, v17
	global_store_dword v[2:3], v0, off offset:2704
	v_pack_b32_f16 v0, v16, v36
	v_fma_f16 v18, v18, 2.0, -v55
	v_fma_f16 v35, v35, 2.0, -v17
	global_store_dword v[2:3], v0, off offset:416
	;; [unrolled: 8-line block ×4, first 2 shown]
	v_pack_b32_f16 v0, v54, v21
	v_sub_f16_e32 v33, v26, v33
	v_sub_f16_e32 v34, v69, v34
	global_store_dword v[2:3], v0, off offset:3328
	v_pack_b32_f16 v0, v20, v53
	v_fma_f16 v29, v29, v43, v67
	v_fma_f16 v26, v26, 2.0, -v33
	v_fma_f16 v43, v69, 2.0, -v34
	global_store_dword v[2:3], v0, off offset:1040
	v_pack_b32_f16 v0, v52, v23
	v_sub_f16_e32 v10, v28, v10
	v_sub_f16_e32 v11, v66, v11
	global_store_dword v[2:3], v0, off offset:3536
	v_pack_b32_f16 v0, v26, v43
	v_fma_f16 v30, v30, v42, v63
	v_fma_f16 v28, v28, 2.0, -v10
	v_fma_f16 v42, v66, 2.0, -v11
	global_store_dword v[2:3], v0, off offset:1248
	v_pack_b32_f16 v0, v33, v34
	v_lshrrev_b32_e32 v4, 4, v14
	v_sub_f16_e32 v29, v22, v29
	v_sub_f16_e32 v41, v50, v41
	global_store_dword v[2:3], v0, off offset:3744
	v_pack_b32_f16 v0, v28, v42
	v_mul_hi_u32 v6, v4, s1
	v_fma_f16 v22, v22, 2.0, -v29
	v_fma_f16 v50, v50, 2.0, -v41
	global_store_dword v[2:3], v0, off offset:1456
	v_pack_b32_f16 v0, v10, v11
	global_store_dword v[2:3], v0, off offset:3952
	v_pack_b32_f16 v0, v22, v50
	v_add_co_u32_e32 v4, vcc, s0, v2
	global_store_dword v[2:3], v0, off offset:1664
	v_pack_b32_f16 v0, v29, v41
	v_addc_co_u32_e32 v5, vcc, 0, v3, vcc
	global_store_dword v[4:5], v0, off offset:64
	v_lshrrev_b32_e32 v0, 2, v6
	v_mul_u32_u24_e32 v0, 0x270, v0
	v_lshlrev_b64 v[4:5], 2, v[0:1]
	v_lshrrev_b32_e32 v8, 4, v13
	v_sub_f16_e32 v30, v24, v30
	v_sub_f16_e32 v40, v49, v40
	v_add_co_u32_e32 v4, vcc, v2, v4
	v_mul_hi_u32 v8, v8, s1
	v_fma_f16 v24, v24, 2.0, -v30
	v_fma_f16 v49, v49, 2.0, -v40
	v_addc_co_u32_e32 v5, vcc, v3, v5, vcc
	s_movk_i32 s0, 0x750
	v_add_co_u32_e32 v6, vcc, s0, v4
	v_pack_b32_f16 v0, v24, v49
	v_addc_co_u32_e32 v7, vcc, 0, v5, vcc
	global_store_dword v[4:5], v0, off offset:1872
	v_pack_b32_f16 v0, v30, v40
	global_store_dword v[6:7], v0, off offset:2496
	v_lshrrev_b32_e32 v0, 2, v8
	v_mul_u32_u24_e32 v0, 0x270, v0
	v_lshlrev_b64 v[4:5], 2, v[0:1]
	v_lshrrev_b32_e32 v8, 4, v12
	v_sub_f16_e32 v31, v25, v31
	v_sub_f16_e32 v38, v48, v38
	v_add_co_u32_e32 v4, vcc, v2, v4
	v_mul_hi_u32 v8, v8, s1
	v_fma_f16 v25, v25, 2.0, -v31
	v_fma_f16 v48, v48, 2.0, -v38
	v_addc_co_u32_e32 v5, vcc, v3, v5, vcc
	s_movk_i32 s0, 0x820
	v_add_co_u32_e32 v6, vcc, s0, v4
	v_pack_b32_f16 v0, v25, v48
	v_addc_co_u32_e32 v7, vcc, 0, v5, vcc
	global_store_dword v[4:5], v0, off offset:2080
	v_pack_b32_f16 v0, v31, v38
	global_store_dword v[6:7], v0, off offset:2496
	v_lshrrev_b32_e32 v0, 2, v8
	v_mul_u32_u24_e32 v0, 0x270, v0
	v_lshlrev_b64 v[0:1], 2, v[0:1]
	v_sub_f16_e32 v32, v27, v32
	v_sub_f16_e32 v37, v47, v37
	v_add_co_u32_e32 v0, vcc, v2, v0
	v_fma_f16 v27, v27, 2.0, -v32
	v_fma_f16 v47, v47, 2.0, -v37
	v_addc_co_u32_e32 v1, vcc, v3, v1, vcc
	v_add_co_u32_e32 v2, vcc, 0x8f0, v0
	v_pack_b32_f16 v4, v27, v47
	v_addc_co_u32_e32 v3, vcc, 0, v1, vcc
	global_store_dword v[0:1], v4, off offset:2288
	v_pack_b32_f16 v0, v32, v37
	global_store_dword v[2:3], v0, off offset:2496
.LBB0_21:
	s_endpgm
	.section	.rodata,"a",@progbits
	.p2align	6, 0x0
	.amdhsa_kernel fft_rtc_back_len1248_factors_2_2_13_2_3_2_2_wgs_52_tpt_52_halfLds_half_ip_CI_unitstride_sbrr_dirReg
		.amdhsa_group_segment_fixed_size 0
		.amdhsa_private_segment_fixed_size 0
		.amdhsa_kernarg_size 88
		.amdhsa_user_sgpr_count 6
		.amdhsa_user_sgpr_private_segment_buffer 1
		.amdhsa_user_sgpr_dispatch_ptr 0
		.amdhsa_user_sgpr_queue_ptr 0
		.amdhsa_user_sgpr_kernarg_segment_ptr 1
		.amdhsa_user_sgpr_dispatch_id 0
		.amdhsa_user_sgpr_flat_scratch_init 0
		.amdhsa_user_sgpr_private_segment_size 0
		.amdhsa_uses_dynamic_stack 0
		.amdhsa_system_sgpr_private_segment_wavefront_offset 0
		.amdhsa_system_sgpr_workgroup_id_x 1
		.amdhsa_system_sgpr_workgroup_id_y 0
		.amdhsa_system_sgpr_workgroup_id_z 0
		.amdhsa_system_sgpr_workgroup_info 0
		.amdhsa_system_vgpr_workitem_id 0
		.amdhsa_next_free_vgpr 124
		.amdhsa_next_free_sgpr 26
		.amdhsa_reserve_vcc 1
		.amdhsa_reserve_flat_scratch 0
		.amdhsa_float_round_mode_32 0
		.amdhsa_float_round_mode_16_64 0
		.amdhsa_float_denorm_mode_32 3
		.amdhsa_float_denorm_mode_16_64 3
		.amdhsa_dx10_clamp 1
		.amdhsa_ieee_mode 1
		.amdhsa_fp16_overflow 0
		.amdhsa_exception_fp_ieee_invalid_op 0
		.amdhsa_exception_fp_denorm_src 0
		.amdhsa_exception_fp_ieee_div_zero 0
		.amdhsa_exception_fp_ieee_overflow 0
		.amdhsa_exception_fp_ieee_underflow 0
		.amdhsa_exception_fp_ieee_inexact 0
		.amdhsa_exception_int_div_zero 0
	.end_amdhsa_kernel
	.text
.Lfunc_end0:
	.size	fft_rtc_back_len1248_factors_2_2_13_2_3_2_2_wgs_52_tpt_52_halfLds_half_ip_CI_unitstride_sbrr_dirReg, .Lfunc_end0-fft_rtc_back_len1248_factors_2_2_13_2_3_2_2_wgs_52_tpt_52_halfLds_half_ip_CI_unitstride_sbrr_dirReg
                                        ; -- End function
	.section	.AMDGPU.csdata,"",@progbits
; Kernel info:
; codeLenInByte = 18692
; NumSgprs: 30
; NumVgprs: 124
; ScratchSize: 0
; MemoryBound: 0
; FloatMode: 240
; IeeeMode: 1
; LDSByteSize: 0 bytes/workgroup (compile time only)
; SGPRBlocks: 3
; VGPRBlocks: 30
; NumSGPRsForWavesPerEU: 30
; NumVGPRsForWavesPerEU: 124
; Occupancy: 2
; WaveLimiterHint : 1
; COMPUTE_PGM_RSRC2:SCRATCH_EN: 0
; COMPUTE_PGM_RSRC2:USER_SGPR: 6
; COMPUTE_PGM_RSRC2:TRAP_HANDLER: 0
; COMPUTE_PGM_RSRC2:TGID_X_EN: 1
; COMPUTE_PGM_RSRC2:TGID_Y_EN: 0
; COMPUTE_PGM_RSRC2:TGID_Z_EN: 0
; COMPUTE_PGM_RSRC2:TIDIG_COMP_CNT: 0
	.type	__hip_cuid_c8dfa41d995d591d,@object ; @__hip_cuid_c8dfa41d995d591d
	.section	.bss,"aw",@nobits
	.globl	__hip_cuid_c8dfa41d995d591d
__hip_cuid_c8dfa41d995d591d:
	.byte	0                               ; 0x0
	.size	__hip_cuid_c8dfa41d995d591d, 1

	.ident	"AMD clang version 19.0.0git (https://github.com/RadeonOpenCompute/llvm-project roc-6.4.0 25133 c7fe45cf4b819c5991fe208aaa96edf142730f1d)"
	.section	".note.GNU-stack","",@progbits
	.addrsig
	.addrsig_sym __hip_cuid_c8dfa41d995d591d
	.amdgpu_metadata
---
amdhsa.kernels:
  - .args:
      - .actual_access:  read_only
        .address_space:  global
        .offset:         0
        .size:           8
        .value_kind:     global_buffer
      - .offset:         8
        .size:           8
        .value_kind:     by_value
      - .actual_access:  read_only
        .address_space:  global
        .offset:         16
        .size:           8
        .value_kind:     global_buffer
      - .actual_access:  read_only
        .address_space:  global
        .offset:         24
        .size:           8
        .value_kind:     global_buffer
      - .offset:         32
        .size:           8
        .value_kind:     by_value
      - .actual_access:  read_only
        .address_space:  global
        .offset:         40
        .size:           8
        .value_kind:     global_buffer
      - .actual_access:  read_only
        .address_space:  global
        .offset:         48
        .size:           8
        .value_kind:     global_buffer
      - .offset:         56
        .size:           4
        .value_kind:     by_value
      - .actual_access:  read_only
        .address_space:  global
        .offset:         64
        .size:           8
        .value_kind:     global_buffer
      - .actual_access:  read_only
        .address_space:  global
        .offset:         72
        .size:           8
        .value_kind:     global_buffer
      - .address_space:  global
        .offset:         80
        .size:           8
        .value_kind:     global_buffer
    .group_segment_fixed_size: 0
    .kernarg_segment_align: 8
    .kernarg_segment_size: 88
    .language:       OpenCL C
    .language_version:
      - 2
      - 0
    .max_flat_workgroup_size: 52
    .name:           fft_rtc_back_len1248_factors_2_2_13_2_3_2_2_wgs_52_tpt_52_halfLds_half_ip_CI_unitstride_sbrr_dirReg
    .private_segment_fixed_size: 0
    .sgpr_count:     30
    .sgpr_spill_count: 0
    .symbol:         fft_rtc_back_len1248_factors_2_2_13_2_3_2_2_wgs_52_tpt_52_halfLds_half_ip_CI_unitstride_sbrr_dirReg.kd
    .uniform_work_group_size: 1
    .uses_dynamic_stack: false
    .vgpr_count:     124
    .vgpr_spill_count: 0
    .wavefront_size: 64
amdhsa.target:   amdgcn-amd-amdhsa--gfx906
amdhsa.version:
  - 1
  - 2
...

	.end_amdgpu_metadata
